;; amdgpu-corpus repo=ROCm/rocBLAS kind=compiled arch=gfx1100 opt=O3
	.text
	.amdgcn_target "amdgcn-amd-amdhsa--gfx1100"
	.amdhsa_code_object_version 6
	.section	.text._ZL35rocblas_iamax_iamin_kernel_part1_64ILi1024E26rocblas_fetch_amax_amin_64IfE22rocblas_reduce_amax_64PKf24rocblas_index_64_value_tIfEEvlT2_lllPT3_,"axG",@progbits,_ZL35rocblas_iamax_iamin_kernel_part1_64ILi1024E26rocblas_fetch_amax_amin_64IfE22rocblas_reduce_amax_64PKf24rocblas_index_64_value_tIfEEvlT2_lllPT3_,comdat
	.globl	_ZL35rocblas_iamax_iamin_kernel_part1_64ILi1024E26rocblas_fetch_amax_amin_64IfE22rocblas_reduce_amax_64PKf24rocblas_index_64_value_tIfEEvlT2_lllPT3_ ; -- Begin function _ZL35rocblas_iamax_iamin_kernel_part1_64ILi1024E26rocblas_fetch_amax_amin_64IfE22rocblas_reduce_amax_64PKf24rocblas_index_64_value_tIfEEvlT2_lllPT3_
	.p2align	8
	.type	_ZL35rocblas_iamax_iamin_kernel_part1_64ILi1024E26rocblas_fetch_amax_amin_64IfE22rocblas_reduce_amax_64PKf24rocblas_index_64_value_tIfEEvlT2_lllPT3_,@function
_ZL35rocblas_iamax_iamin_kernel_part1_64ILi1024E26rocblas_fetch_amax_amin_64IfE22rocblas_reduce_amax_64PKf24rocblas_index_64_value_tIfEEvlT2_lllPT3_: ; @_ZL35rocblas_iamax_iamin_kernel_part1_64ILi1024E26rocblas_fetch_amax_amin_64IfE22rocblas_reduce_amax_64PKf24rocblas_index_64_value_tIfEEvlT2_lllPT3_
; %bb.0:
	s_clause 0x1
	s_load_b256 s[16:23], s[0:1], 0x0
	s_load_b128 s[8:11], s[0:1], 0x20
	s_mov_b32 s2, s15
	s_waitcnt lgkmcnt(0)
	v_cmp_lt_i64_e64 s3, s[16:17], 1
	s_delay_alu instid0(VALU_DEP_1)
	s_and_b32 vcc_lo, exec_lo, s3
	s_cbranch_vccnz .LBB0_53
; %bb.1:
	v_mbcnt_lo_u32_b32 v3, -1, 0
	v_lshl_or_b32 v14, s14, 10, v0
	s_load_b32 s5, s[0:1], 0x30
	s_mul_i32 s6, s9, s2
	s_mul_hi_u32 s7, s8, s2
	v_cmp_gt_u32_e32 vcc_lo, 16, v3
	s_add_i32 s7, s7, s6
	s_mul_i32 s6, s8, s2
	s_lshl_b64 s[8:9], s[20:21], 2
	s_lshl_b64 s[6:7], s[6:7], 2
	v_cndmask_b32_e64 v1, 0, 1, vcc_lo
	v_cmp_gt_u32_e32 vcc_lo, 24, v3
	v_cmp_gt_u32_e64 s3, 32, v0
	s_mov_b64 s[12:13], 0
                                        ; implicit-def: $vgpr22
	s_delay_alu instid0(VALU_DEP_3) | instskip(SKIP_2) | instid1(VALU_DEP_3)
	v_lshlrev_b32_e32 v1, 4, v1
	v_cndmask_b32_e64 v2, 0, 1, vcc_lo
	v_cmp_gt_u32_e32 vcc_lo, 28, v3
	v_add_lshl_u32 v16, v1, v3, 2
	s_delay_alu instid0(VALU_DEP_3)
	v_lshlrev_b32_e32 v2, 3, v2
	v_cndmask_b32_e64 v4, 0, 1, vcc_lo
	v_cmp_gt_u32_e32 vcc_lo, 30, v3
	s_waitcnt lgkmcnt(0)
	s_lshl_b32 s15, s5, 10
	s_add_u32 s5, s18, s8
	s_addc_u32 s8, s19, s9
	s_add_u32 s5, s5, s6
	v_cndmask_b32_e64 v6, 0, 1, vcc_lo
	v_cmp_ne_u32_e32 vcc_lo, 31, v3
	s_addc_u32 s6, s8, s7
	s_mul_i32 s7, s23, s15
	s_mul_hi_u32 s8, s22, s15
	v_lshlrev_b32_e32 v6, 1, v6
	v_add_co_ci_u32_e32 v7, vcc_lo, 0, v3, vcc_lo
	v_cmp_ne_u32_e32 vcc_lo, 0, v0
	s_add_i32 s7, s8, s7
	s_delay_alu instid0(VALU_DEP_3) | instskip(SKIP_3) | instid1(VALU_DEP_2)
	v_add_lshl_u32 v19, v6, v3, 2
	v_lshrrev_b32_e32 v6, 1, v0
	v_lshlrev_b32_e32 v20, 2, v7
	s_xor_b32 s18, vcc_lo, -1
	v_dual_mov_b32 v6, 0 :: v_dual_and_b32 v21, 0x1f0, v6
	v_mov_b32_e32 v7, 0
	v_add_lshl_u32 v17, v2, v3, 2
	v_mad_u64_u32 v[1:2], null, s22, v14, 0
	v_lshlrev_b32_e32 v4, 2, v4
	s_delay_alu instid0(VALU_DEP_1) | instskip(NEXT) | instid1(VALU_DEP_3)
	v_add_lshl_u32 v18, v4, v3, 2
	v_mad_u64_u32 v[3:4], null, s23, v14, v[2:3]
	v_dual_mov_b32 v4, 0 :: v_dual_and_b32 v5, 31, v0
	s_delay_alu instid0(VALU_DEP_1) | instskip(SKIP_1) | instid1(VALU_DEP_2)
	v_dual_mov_b32 v2, v3 :: v_dual_lshlrev_b32 v15, 4, v5
	v_cmp_eq_u32_e64 s4, 0, v5
	v_lshlrev_b64 v[1:2], 2, v[1:2]
	s_delay_alu instid0(VALU_DEP_1) | instskip(NEXT) | instid1(VALU_DEP_1)
	v_add_co_u32 v8, s5, s5, v1
	v_add_co_ci_u32_e64 v9, s5, s6, v2, s5
	v_dual_mov_b32 v1, v6 :: v_dual_mov_b32 v2, v7
	s_mul_i32 s6, s22, s15
	s_delay_alu instid0(SALU_CYCLE_1)
	s_lshl_b64 s[8:9], s[6:7], 2
	s_branch .LBB0_4
.LBB0_2:                                ;   in Loop: Header=BB0_4 Depth=1
	s_or_b32 exec_lo, exec_lo, s7
	s_delay_alu instid0(VALU_DEP_2) | instskip(NEXT) | instid1(VALU_DEP_2)
	v_dual_mov_b32 v1, v10 :: v_dual_mov_b32 v2, v11
	v_mov_b32_e32 v3, v5
.LBB0_3:                                ;   in Loop: Header=BB0_4 Depth=1
	s_or_b32 exec_lo, exec_lo, s6
	s_add_u32 s12, s12, s15
	s_addc_u32 s13, s13, 0
	v_add_co_u32 v8, vcc_lo, v8, s8
	v_cmp_ge_i64_e64 s5, s[12:13], s[16:17]
	v_add_co_ci_u32_e32 v9, vcc_lo, s9, v9, vcc_lo
	s_delay_alu instid0(VALU_DEP_2)
	s_and_b32 vcc_lo, exec_lo, s5
	s_cbranch_vccnz .LBB0_54
.LBB0_4:                                ; =>This Inner Loop Header: Depth=1
	v_add_co_u32 v12, s5, v14, s12
	s_delay_alu instid0(VALU_DEP_1) | instskip(SKIP_2) | instid1(VALU_DEP_2)
	v_add_co_ci_u32_e64 v13, null, 0, s13, s5
	v_dual_mov_b32 v11, v7 :: v_dual_mov_b32 v10, v6
	s_mov_b32 s5, exec_lo
	v_cmpx_gt_i64_e64 s[16:17], v[12:13]
	s_cbranch_execz .LBB0_6
; %bb.5:                                ;   in Loop: Header=BB0_4 Depth=1
	global_load_b32 v5, v[8:9], off
	v_add_co_u32 v10, vcc_lo, v12, 1
	v_add_co_ci_u32_e32 v11, vcc_lo, 0, v13, vcc_lo
	s_waitcnt vmcnt(0)
	v_cmp_gt_f32_e32 vcc_lo, 0, v5
	s_waitcnt lgkmcnt(0)
	v_cndmask_b32_e64 v22, v5, -v5, vcc_lo
.LBB0_6:                                ;   in Loop: Header=BB0_4 Depth=1
	s_or_b32 exec_lo, exec_lo, s5
	s_and_saveexec_b32 s5, s3
	s_cbranch_execz .LBB0_8
; %bb.7:                                ;   in Loop: Header=BB0_4 Depth=1
	v_mov_b32_e32 v5, v4
	ds_store_b64 v15, v[4:5]
	ds_store_b32 v15, v4 offset:8
.LBB0_8:                                ;   in Loop: Header=BB0_4 Depth=1
	s_or_b32 exec_lo, exec_lo, s5
	ds_bpermute_b32 v12, v16, v10
	ds_bpermute_b32 v13, v16, v11
	s_waitcnt lgkmcnt(2)
	ds_bpermute_b32 v23, v16, v22
	v_mov_b32_e32 v5, v22
	s_mov_b32 s6, exec_lo
	s_waitcnt lgkmcnt(0)
	s_barrier
	buffer_gl0_inv
	v_cmpx_ne_u64_e32 0, v[12:13]
	s_cbranch_execz .LBB0_12
; %bb.9:                                ;   in Loop: Header=BB0_4 Depth=1
	v_cmp_ne_u64_e32 vcc_lo, 0, v[10:11]
	v_cmp_nlt_f32_e64 s5, v22, v23
	s_delay_alu instid0(VALU_DEP_1) | instskip(NEXT) | instid1(SALU_CYCLE_1)
	s_and_b32 s5, vcc_lo, s5
	s_and_saveexec_b32 s7, s5
; %bb.10:                               ;   in Loop: Header=BB0_4 Depth=1
	v_cmp_lt_i64_e32 vcc_lo, v[12:13], v[10:11]
	v_cmp_eq_f32_e64 s5, v22, v23
	v_mov_b32_e32 v23, v22
	v_cndmask_b32_e32 v5, v11, v13, vcc_lo
	s_delay_alu instid0(VALU_DEP_3) | instskip(SKIP_1) | instid1(VALU_DEP_2)
	s_and_b32 vcc_lo, s5, vcc_lo
	v_cndmask_b32_e32 v12, v10, v12, vcc_lo
	v_cndmask_b32_e64 v13, v11, v5, s5
; %bb.11:                               ;   in Loop: Header=BB0_4 Depth=1
	s_or_b32 exec_lo, exec_lo, s7
	s_delay_alu instid0(VALU_DEP_2) | instskip(NEXT) | instid1(VALU_DEP_2)
	v_dual_mov_b32 v10, v12 :: v_dual_mov_b32 v5, v23
	v_dual_mov_b32 v22, v23 :: v_dual_mov_b32 v11, v13
.LBB0_12:                               ;   in Loop: Header=BB0_4 Depth=1
	s_or_b32 exec_lo, exec_lo, s6
	ds_bpermute_b32 v12, v17, v10
	ds_bpermute_b32 v13, v17, v11
	ds_bpermute_b32 v23, v17, v22
	s_mov_b32 s6, exec_lo
	s_waitcnt lgkmcnt(1)
	v_cmpx_ne_u64_e32 0, v[12:13]
	s_cbranch_execz .LBB0_16
; %bb.13:                               ;   in Loop: Header=BB0_4 Depth=1
	v_cmp_ne_u64_e32 vcc_lo, 0, v[10:11]
	s_waitcnt lgkmcnt(0)
	v_cmp_nlt_f32_e64 s5, v5, v23
	v_mov_b32_e32 v24, v23
	s_delay_alu instid0(VALU_DEP_2) | instskip(NEXT) | instid1(SALU_CYCLE_1)
	s_and_b32 s5, vcc_lo, s5
	s_and_saveexec_b32 s7, s5
; %bb.14:                               ;   in Loop: Header=BB0_4 Depth=1
	v_cmp_lt_i64_e32 vcc_lo, v[12:13], v[10:11]
	v_cmp_eq_f32_e64 s5, v5, v23
	v_dual_mov_b32 v23, v22 :: v_dual_mov_b32 v24, v5
	v_cndmask_b32_e32 v13, v11, v13, vcc_lo
	s_delay_alu instid0(VALU_DEP_3) | instskip(SKIP_1) | instid1(VALU_DEP_2)
	s_and_b32 vcc_lo, s5, vcc_lo
	v_cndmask_b32_e32 v12, v10, v12, vcc_lo
	v_cndmask_b32_e64 v13, v11, v13, s5
; %bb.15:                               ;   in Loop: Header=BB0_4 Depth=1
	s_or_b32 exec_lo, exec_lo, s7
	s_delay_alu instid0(VALU_DEP_2) | instskip(NEXT) | instid1(VALU_DEP_2)
	v_mov_b32_e32 v10, v12
	v_dual_mov_b32 v22, v23 :: v_dual_mov_b32 v11, v13
	v_mov_b32_e32 v5, v24
.LBB0_16:                               ;   in Loop: Header=BB0_4 Depth=1
	s_or_b32 exec_lo, exec_lo, s6
	ds_bpermute_b32 v12, v18, v10
	ds_bpermute_b32 v13, v18, v11
	s_waitcnt lgkmcnt(2)
	ds_bpermute_b32 v23, v18, v22
	s_mov_b32 s6, exec_lo
	s_waitcnt lgkmcnt(1)
	v_cmpx_ne_u64_e32 0, v[12:13]
	s_cbranch_execz .LBB0_20
; %bb.17:                               ;   in Loop: Header=BB0_4 Depth=1
	v_cmp_ne_u64_e32 vcc_lo, 0, v[10:11]
	s_waitcnt lgkmcnt(0)
	v_cmp_nlt_f32_e64 s5, v5, v23
	v_mov_b32_e32 v24, v23
	s_delay_alu instid0(VALU_DEP_2) | instskip(NEXT) | instid1(SALU_CYCLE_1)
	s_and_b32 s5, vcc_lo, s5
	s_and_saveexec_b32 s7, s5
; %bb.18:                               ;   in Loop: Header=BB0_4 Depth=1
	v_cmp_lt_i64_e32 vcc_lo, v[12:13], v[10:11]
	v_cmp_eq_f32_e64 s5, v5, v23
	v_dual_mov_b32 v23, v22 :: v_dual_mov_b32 v24, v5
	v_cndmask_b32_e32 v13, v11, v13, vcc_lo
	s_delay_alu instid0(VALU_DEP_3) | instskip(SKIP_1) | instid1(VALU_DEP_2)
	s_and_b32 vcc_lo, s5, vcc_lo
	v_cndmask_b32_e32 v12, v10, v12, vcc_lo
	v_cndmask_b32_e64 v13, v11, v13, s5
; %bb.19:                               ;   in Loop: Header=BB0_4 Depth=1
	s_or_b32 exec_lo, exec_lo, s7
	s_delay_alu instid0(VALU_DEP_2) | instskip(NEXT) | instid1(VALU_DEP_2)
	v_mov_b32_e32 v10, v12
	v_dual_mov_b32 v22, v23 :: v_dual_mov_b32 v11, v13
	v_mov_b32_e32 v5, v24
.LBB0_20:                               ;   in Loop: Header=BB0_4 Depth=1
	s_or_b32 exec_lo, exec_lo, s6
	ds_bpermute_b32 v12, v19, v10
	ds_bpermute_b32 v13, v19, v11
	s_waitcnt lgkmcnt(2)
	ds_bpermute_b32 v23, v19, v22
	s_mov_b32 s6, exec_lo
	s_waitcnt lgkmcnt(1)
	v_cmpx_ne_u64_e32 0, v[12:13]
	s_cbranch_execz .LBB0_24
; %bb.21:                               ;   in Loop: Header=BB0_4 Depth=1
	v_cmp_ne_u64_e32 vcc_lo, 0, v[10:11]
	s_waitcnt lgkmcnt(0)
	v_cmp_nlt_f32_e64 s5, v5, v23
	v_mov_b32_e32 v24, v23
	s_delay_alu instid0(VALU_DEP_2) | instskip(NEXT) | instid1(SALU_CYCLE_1)
	s_and_b32 s5, vcc_lo, s5
	s_and_saveexec_b32 s7, s5
; %bb.22:                               ;   in Loop: Header=BB0_4 Depth=1
	v_cmp_lt_i64_e32 vcc_lo, v[12:13], v[10:11]
	v_cmp_eq_f32_e64 s5, v5, v23
	v_dual_mov_b32 v23, v22 :: v_dual_mov_b32 v24, v5
	v_cndmask_b32_e32 v13, v11, v13, vcc_lo
	s_delay_alu instid0(VALU_DEP_3) | instskip(SKIP_1) | instid1(VALU_DEP_2)
	s_and_b32 vcc_lo, s5, vcc_lo
	v_cndmask_b32_e32 v12, v10, v12, vcc_lo
	v_cndmask_b32_e64 v13, v11, v13, s5
; %bb.23:                               ;   in Loop: Header=BB0_4 Depth=1
	s_or_b32 exec_lo, exec_lo, s7
	s_delay_alu instid0(VALU_DEP_2) | instskip(NEXT) | instid1(VALU_DEP_2)
	v_mov_b32_e32 v10, v12
	v_dual_mov_b32 v22, v23 :: v_dual_mov_b32 v11, v13
	v_mov_b32_e32 v5, v24
.LBB0_24:                               ;   in Loop: Header=BB0_4 Depth=1
	s_or_b32 exec_lo, exec_lo, s6
	ds_bpermute_b32 v12, v20, v10
	ds_bpermute_b32 v13, v20, v11
	;; [unrolled: 1-line block ×3, first 2 shown]
	s_mov_b32 s19, exec_lo
	s_waitcnt lgkmcnt(1)
	v_cmpx_ne_u64_e32 0, v[12:13]
	s_cbranch_execz .LBB0_26
; %bb.25:                               ;   in Loop: Header=BB0_4 Depth=1
	v_cmp_lt_i64_e32 vcc_lo, v[12:13], v[10:11]
	s_waitcnt lgkmcnt(0)
	v_cmp_eq_f32_e64 s5, v5, v22
	v_cmp_eq_u64_e64 s6, 0, v[10:11]
	v_cmp_lt_f32_e64 s7, v5, v22
	s_delay_alu instid0(VALU_DEP_3) | instskip(NEXT) | instid1(VALU_DEP_1)
	s_and_b32 vcc_lo, s5, vcc_lo
	s_or_b32 s5, s6, s7
	v_cndmask_b32_e32 v11, v11, v13, vcc_lo
	s_or_b32 vcc_lo, s5, vcc_lo
	v_cndmask_b32_e64 v5, v5, v22, s5
	v_cndmask_b32_e32 v10, v10, v12, vcc_lo
	s_delay_alu instid0(VALU_DEP_3)
	v_cndmask_b32_e64 v11, v11, v13, s5
.LBB0_26:                               ;   in Loop: Header=BB0_4 Depth=1
	s_or_b32 exec_lo, exec_lo, s19
	s_and_saveexec_b32 s5, s4
	s_cbranch_execz .LBB0_28
; %bb.27:                               ;   in Loop: Header=BB0_4 Depth=1
	ds_store_b64 v21, v[10:11]
	ds_store_b32 v21, v5 offset:8
.LBB0_28:                               ;   in Loop: Header=BB0_4 Depth=1
	s_or_b32 exec_lo, exec_lo, s5
	v_mov_b32_e32 v10, 0
	s_waitcnt lgkmcnt(0)
	v_dual_mov_b32 v11, 0 :: v_dual_mov_b32 v22, 0
	s_barrier
	buffer_gl0_inv
	s_and_saveexec_b32 s5, s3
	s_cbranch_execz .LBB0_30
; %bb.29:                               ;   in Loop: Header=BB0_4 Depth=1
	ds_load_b64 v[10:11], v15
	ds_load_b32 v22, v15 offset:8
.LBB0_30:                               ;   in Loop: Header=BB0_4 Depth=1
	s_or_b32 exec_lo, exec_lo, s5
	s_and_saveexec_b32 s19, s3
	s_cbranch_execz .LBB0_50
; %bb.31:                               ;   in Loop: Header=BB0_4 Depth=1
	s_waitcnt lgkmcnt(1)
	ds_bpermute_b32 v12, v16, v10
	ds_bpermute_b32 v13, v16, v11
	s_waitcnt lgkmcnt(2)
	ds_bpermute_b32 v23, v16, v22
	v_mov_b32_e32 v5, v22
	s_mov_b32 s6, exec_lo
	s_waitcnt lgkmcnt(1)
	v_cmpx_ne_u64_e32 0, v[12:13]
	s_cbranch_execz .LBB0_35
; %bb.32:                               ;   in Loop: Header=BB0_4 Depth=1
	v_cmp_ne_u64_e32 vcc_lo, 0, v[10:11]
	s_waitcnt lgkmcnt(0)
	v_cmp_nlt_f32_e64 s5, v22, v23
	s_delay_alu instid0(VALU_DEP_1) | instskip(NEXT) | instid1(SALU_CYCLE_1)
	s_and_b32 s5, vcc_lo, s5
	s_and_saveexec_b32 s7, s5
; %bb.33:                               ;   in Loop: Header=BB0_4 Depth=1
	v_cmp_lt_i64_e32 vcc_lo, v[12:13], v[10:11]
	v_cmp_eq_f32_e64 s5, v22, v23
	v_mov_b32_e32 v23, v22
	v_cndmask_b32_e32 v5, v11, v13, vcc_lo
	s_delay_alu instid0(VALU_DEP_3) | instskip(SKIP_1) | instid1(VALU_DEP_2)
	s_and_b32 vcc_lo, s5, vcc_lo
	v_cndmask_b32_e32 v12, v10, v12, vcc_lo
	v_cndmask_b32_e64 v13, v11, v5, s5
; %bb.34:                               ;   in Loop: Header=BB0_4 Depth=1
	s_or_b32 exec_lo, exec_lo, s7
	s_delay_alu instid0(VALU_DEP_2) | instskip(NEXT) | instid1(VALU_DEP_2)
	v_dual_mov_b32 v10, v12 :: v_dual_mov_b32 v5, v23
	v_dual_mov_b32 v22, v23 :: v_dual_mov_b32 v11, v13
.LBB0_35:                               ;   in Loop: Header=BB0_4 Depth=1
	s_or_b32 exec_lo, exec_lo, s6
	ds_bpermute_b32 v12, v17, v10
	ds_bpermute_b32 v13, v17, v11
	s_waitcnt lgkmcnt(2)
	ds_bpermute_b32 v23, v17, v22
	s_mov_b32 s6, exec_lo
	s_waitcnt lgkmcnt(1)
	v_cmpx_ne_u64_e32 0, v[12:13]
	s_cbranch_execz .LBB0_39
; %bb.36:                               ;   in Loop: Header=BB0_4 Depth=1
	v_cmp_ne_u64_e32 vcc_lo, 0, v[10:11]
	s_waitcnt lgkmcnt(0)
	v_cmp_nlt_f32_e64 s5, v5, v23
	v_mov_b32_e32 v24, v23
	s_delay_alu instid0(VALU_DEP_2) | instskip(NEXT) | instid1(SALU_CYCLE_1)
	s_and_b32 s5, vcc_lo, s5
	s_and_saveexec_b32 s7, s5
; %bb.37:                               ;   in Loop: Header=BB0_4 Depth=1
	v_cmp_lt_i64_e32 vcc_lo, v[12:13], v[10:11]
	v_cmp_eq_f32_e64 s5, v5, v23
	v_dual_mov_b32 v23, v22 :: v_dual_mov_b32 v24, v5
	v_cndmask_b32_e32 v13, v11, v13, vcc_lo
	s_delay_alu instid0(VALU_DEP_3) | instskip(SKIP_1) | instid1(VALU_DEP_2)
	s_and_b32 vcc_lo, s5, vcc_lo
	v_cndmask_b32_e32 v12, v10, v12, vcc_lo
	v_cndmask_b32_e64 v13, v11, v13, s5
; %bb.38:                               ;   in Loop: Header=BB0_4 Depth=1
	s_or_b32 exec_lo, exec_lo, s7
	s_delay_alu instid0(VALU_DEP_2) | instskip(NEXT) | instid1(VALU_DEP_2)
	v_mov_b32_e32 v10, v12
	v_dual_mov_b32 v22, v23 :: v_dual_mov_b32 v11, v13
	v_mov_b32_e32 v5, v24
.LBB0_39:                               ;   in Loop: Header=BB0_4 Depth=1
	s_or_b32 exec_lo, exec_lo, s6
	ds_bpermute_b32 v12, v18, v10
	ds_bpermute_b32 v13, v18, v11
	s_waitcnt lgkmcnt(2)
	ds_bpermute_b32 v23, v18, v22
	s_mov_b32 s6, exec_lo
	s_waitcnt lgkmcnt(1)
	v_cmpx_ne_u64_e32 0, v[12:13]
	s_cbranch_execz .LBB0_43
; %bb.40:                               ;   in Loop: Header=BB0_4 Depth=1
	v_cmp_ne_u64_e32 vcc_lo, 0, v[10:11]
	s_waitcnt lgkmcnt(0)
	v_cmp_nlt_f32_e64 s5, v5, v23
	v_mov_b32_e32 v24, v23
	s_delay_alu instid0(VALU_DEP_2) | instskip(NEXT) | instid1(SALU_CYCLE_1)
	s_and_b32 s5, vcc_lo, s5
	s_and_saveexec_b32 s7, s5
; %bb.41:                               ;   in Loop: Header=BB0_4 Depth=1
	v_cmp_lt_i64_e32 vcc_lo, v[12:13], v[10:11]
	v_cmp_eq_f32_e64 s5, v5, v23
	v_dual_mov_b32 v23, v22 :: v_dual_mov_b32 v24, v5
	v_cndmask_b32_e32 v13, v11, v13, vcc_lo
	s_delay_alu instid0(VALU_DEP_3) | instskip(SKIP_1) | instid1(VALU_DEP_2)
	s_and_b32 vcc_lo, s5, vcc_lo
	v_cndmask_b32_e32 v12, v10, v12, vcc_lo
	v_cndmask_b32_e64 v13, v11, v13, s5
; %bb.42:                               ;   in Loop: Header=BB0_4 Depth=1
	s_or_b32 exec_lo, exec_lo, s7
	s_delay_alu instid0(VALU_DEP_2) | instskip(NEXT) | instid1(VALU_DEP_2)
	v_mov_b32_e32 v10, v12
	v_dual_mov_b32 v22, v23 :: v_dual_mov_b32 v11, v13
	v_mov_b32_e32 v5, v24
.LBB0_43:                               ;   in Loop: Header=BB0_4 Depth=1
	;; [unrolled: 33-line block ×3, first 2 shown]
	s_or_b32 exec_lo, exec_lo, s6
	ds_bpermute_b32 v12, v20, v10
	ds_bpermute_b32 v13, v20, v11
	;; [unrolled: 1-line block ×3, first 2 shown]
	s_mov_b32 s20, exec_lo
	s_waitcnt lgkmcnt(1)
	v_cmpx_ne_u64_e32 0, v[12:13]
	s_cbranch_execz .LBB0_49
; %bb.48:                               ;   in Loop: Header=BB0_4 Depth=1
	v_cmp_lt_i64_e32 vcc_lo, v[12:13], v[10:11]
	s_waitcnt lgkmcnt(0)
	v_cmp_eq_f32_e64 s5, v5, v22
	v_cmp_eq_u64_e64 s6, 0, v[10:11]
	v_cmp_lt_f32_e64 s7, v5, v22
	s_delay_alu instid0(VALU_DEP_3) | instskip(NEXT) | instid1(VALU_DEP_1)
	s_and_b32 vcc_lo, s5, vcc_lo
	s_or_b32 s5, s6, s7
	v_cndmask_b32_e32 v11, v11, v13, vcc_lo
	s_or_b32 vcc_lo, s5, vcc_lo
	v_cndmask_b32_e64 v5, v5, v22, s5
	v_cndmask_b32_e32 v10, v10, v12, vcc_lo
	s_delay_alu instid0(VALU_DEP_3)
	v_cndmask_b32_e64 v11, v11, v13, s5
.LBB0_49:                               ;   in Loop: Header=BB0_4 Depth=1
	s_or_b32 exec_lo, exec_lo, s20
	s_waitcnt lgkmcnt(0)
	v_mov_b32_e32 v22, v5
.LBB0_50:                               ;   in Loop: Header=BB0_4 Depth=1
	s_or_b32 exec_lo, exec_lo, s19
	s_waitcnt lgkmcnt(1)
	v_cmp_ne_u64_e32 vcc_lo, 0, v[10:11]
	s_and_b32 s5, s18, vcc_lo
	s_delay_alu instid0(SALU_CYCLE_1)
	s_and_saveexec_b32 s6, s5
	s_cbranch_execz .LBB0_3
; %bb.51:                               ;   in Loop: Header=BB0_4 Depth=1
	v_cmp_ne_u64_e32 vcc_lo, 0, v[1:2]
	s_waitcnt lgkmcnt(0)
	v_cmp_ngt_f32_e64 s5, v22, v3
	v_mov_b32_e32 v5, v22
	s_delay_alu instid0(VALU_DEP_2) | instskip(NEXT) | instid1(SALU_CYCLE_1)
	s_and_b32 s5, vcc_lo, s5
	s_and_saveexec_b32 s7, s5
	s_cbranch_execz .LBB0_2
; %bb.52:                               ;   in Loop: Header=BB0_4 Depth=1
	v_cmp_lt_i64_e32 vcc_lo, v[10:11], v[1:2]
	v_cmp_eq_f32_e64 s5, v3, v22
	v_cndmask_b32_e32 v5, v2, v11, vcc_lo
	s_delay_alu instid0(VALU_DEP_2) | instskip(SKIP_1) | instid1(VALU_DEP_2)
	s_and_b32 vcc_lo, s5, vcc_lo
	v_cndmask_b32_e32 v10, v1, v10, vcc_lo
	v_cndmask_b32_e64 v11, v2, v5, s5
	v_mov_b32_e32 v5, v3
	s_branch .LBB0_2
.LBB0_53:
	v_mov_b32_e32 v1, 0
	v_mov_b32_e32 v2, 0
.LBB0_54:
	s_mov_b32 s15, 0
	s_mov_b32 s3, exec_lo
	v_cmpx_eq_u32_e32 0, v0
	s_cbranch_execz .LBB0_56
; %bb.55:
	s_load_b32 s0, s[0:1], 0x30
	v_mov_b32_e32 v0, 0
	s_waitcnt lgkmcnt(0)
	s_mul_hi_u32 s1, s0, s2
	s_mul_i32 s0, s0, s2
	s_delay_alu instid0(SALU_CYCLE_1) | instskip(NEXT) | instid1(SALU_CYCLE_1)
	s_lshl_b64 s[0:1], s[0:1], 4
	s_add_u32 s2, s10, s0
	s_addc_u32 s3, s11, s1
	s_lshl_b64 s[0:1], s[14:15], 4
	s_delay_alu instid0(SALU_CYCLE_1)
	s_add_u32 s0, s2, s0
	s_addc_u32 s1, s3, s1
	global_store_b96 v0, v[1:3], s[0:1]
.LBB0_56:
	s_nop 0
	s_sendmsg sendmsg(MSG_DEALLOC_VGPRS)
	s_endpgm
	.section	.rodata,"a",@progbits
	.p2align	6, 0x0
	.amdhsa_kernel _ZL35rocblas_iamax_iamin_kernel_part1_64ILi1024E26rocblas_fetch_amax_amin_64IfE22rocblas_reduce_amax_64PKf24rocblas_index_64_value_tIfEEvlT2_lllPT3_
		.amdhsa_group_segment_fixed_size 512
		.amdhsa_private_segment_fixed_size 0
		.amdhsa_kernarg_size 304
		.amdhsa_user_sgpr_count 14
		.amdhsa_user_sgpr_dispatch_ptr 0
		.amdhsa_user_sgpr_queue_ptr 0
		.amdhsa_user_sgpr_kernarg_segment_ptr 1
		.amdhsa_user_sgpr_dispatch_id 0
		.amdhsa_user_sgpr_private_segment_size 0
		.amdhsa_wavefront_size32 1
		.amdhsa_uses_dynamic_stack 0
		.amdhsa_enable_private_segment 0
		.amdhsa_system_sgpr_workgroup_id_x 1
		.amdhsa_system_sgpr_workgroup_id_y 0
		.amdhsa_system_sgpr_workgroup_id_z 1
		.amdhsa_system_sgpr_workgroup_info 0
		.amdhsa_system_vgpr_workitem_id 0
		.amdhsa_next_free_vgpr 25
		.amdhsa_next_free_sgpr 24
		.amdhsa_reserve_vcc 1
		.amdhsa_float_round_mode_32 0
		.amdhsa_float_round_mode_16_64 0
		.amdhsa_float_denorm_mode_32 3
		.amdhsa_float_denorm_mode_16_64 3
		.amdhsa_dx10_clamp 1
		.amdhsa_ieee_mode 1
		.amdhsa_fp16_overflow 0
		.amdhsa_workgroup_processor_mode 1
		.amdhsa_memory_ordered 1
		.amdhsa_forward_progress 0
		.amdhsa_shared_vgpr_count 0
		.amdhsa_exception_fp_ieee_invalid_op 0
		.amdhsa_exception_fp_denorm_src 0
		.amdhsa_exception_fp_ieee_div_zero 0
		.amdhsa_exception_fp_ieee_overflow 0
		.amdhsa_exception_fp_ieee_underflow 0
		.amdhsa_exception_fp_ieee_inexact 0
		.amdhsa_exception_int_div_zero 0
	.end_amdhsa_kernel
	.section	.text._ZL35rocblas_iamax_iamin_kernel_part1_64ILi1024E26rocblas_fetch_amax_amin_64IfE22rocblas_reduce_amax_64PKf24rocblas_index_64_value_tIfEEvlT2_lllPT3_,"axG",@progbits,_ZL35rocblas_iamax_iamin_kernel_part1_64ILi1024E26rocblas_fetch_amax_amin_64IfE22rocblas_reduce_amax_64PKf24rocblas_index_64_value_tIfEEvlT2_lllPT3_,comdat
.Lfunc_end0:
	.size	_ZL35rocblas_iamax_iamin_kernel_part1_64ILi1024E26rocblas_fetch_amax_amin_64IfE22rocblas_reduce_amax_64PKf24rocblas_index_64_value_tIfEEvlT2_lllPT3_, .Lfunc_end0-_ZL35rocblas_iamax_iamin_kernel_part1_64ILi1024E26rocblas_fetch_amax_amin_64IfE22rocblas_reduce_amax_64PKf24rocblas_index_64_value_tIfEEvlT2_lllPT3_
                                        ; -- End function
	.section	.AMDGPU.csdata,"",@progbits
; Kernel info:
; codeLenInByte = 2308
; NumSgprs: 26
; NumVgprs: 25
; ScratchSize: 0
; MemoryBound: 0
; FloatMode: 240
; IeeeMode: 1
; LDSByteSize: 512 bytes/workgroup (compile time only)
; SGPRBlocks: 3
; VGPRBlocks: 3
; NumSGPRsForWavesPerEU: 26
; NumVGPRsForWavesPerEU: 25
; Occupancy: 16
; WaveLimiterHint : 0
; COMPUTE_PGM_RSRC2:SCRATCH_EN: 0
; COMPUTE_PGM_RSRC2:USER_SGPR: 14
; COMPUTE_PGM_RSRC2:TRAP_HANDLER: 0
; COMPUTE_PGM_RSRC2:TGID_X_EN: 1
; COMPUTE_PGM_RSRC2:TGID_Y_EN: 0
; COMPUTE_PGM_RSRC2:TGID_Z_EN: 1
; COMPUTE_PGM_RSRC2:TIDIG_COMP_CNT: 0
	.section	.text._ZL35rocblas_iamax_iamin_kernel_part2_64ILi1024E22rocblas_reduce_amax_6424rocblas_index_64_value_tIfElEviPT1_PT2_,"axG",@progbits,_ZL35rocblas_iamax_iamin_kernel_part2_64ILi1024E22rocblas_reduce_amax_6424rocblas_index_64_value_tIfElEviPT1_PT2_,comdat
	.globl	_ZL35rocblas_iamax_iamin_kernel_part2_64ILi1024E22rocblas_reduce_amax_6424rocblas_index_64_value_tIfElEviPT1_PT2_ ; -- Begin function _ZL35rocblas_iamax_iamin_kernel_part2_64ILi1024E22rocblas_reduce_amax_6424rocblas_index_64_value_tIfElEviPT1_PT2_
	.p2align	8
	.type	_ZL35rocblas_iamax_iamin_kernel_part2_64ILi1024E22rocblas_reduce_amax_6424rocblas_index_64_value_tIfElEviPT1_PT2_,@function
_ZL35rocblas_iamax_iamin_kernel_part2_64ILi1024E22rocblas_reduce_amax_6424rocblas_index_64_value_tIfElEviPT1_PT2_: ; @_ZL35rocblas_iamax_iamin_kernel_part2_64ILi1024E22rocblas_reduce_amax_6424rocblas_index_64_value_tIfElEviPT1_PT2_
; %bb.0:
	s_clause 0x1
	s_load_b32 s3, s[0:1], 0x0
	s_load_b128 s[4:7], s[0:1], 0x8
	v_mov_b32_e32 v1, 0
	v_mov_b32_e32 v2, 0
	s_mov_b32 s8, s15
	s_mov_b32 s2, exec_lo
	s_waitcnt lgkmcnt(0)
	v_cmpx_gt_i32_e64 s3, v0
	s_cbranch_execz .LBB1_10
; %bb.1:
	s_mul_hi_u32 s1, s3, s8
	s_mul_i32 s0, s3, s8
	v_lshlrev_b32_e32 v4, 4, v0
	s_lshl_b64 s[0:1], s[0:1], 4
	v_or_b32_e32 v8, 0x400, v0
	s_add_u32 s10, s4, s0
	s_addc_u32 s11, s5, s1
	s_mov_b32 s9, exec_lo
	global_load_b96 v[1:3], v4, s[10:11]
	v_cmpx_gt_u32_e64 s3, v8
	s_cbranch_execz .LBB1_9
; %bb.2:
	s_add_u32 s0, s4, s0
	s_addc_u32 s1, s5, s1
	v_add_co_u32 v4, s0, s0, v4
	s_delay_alu instid0(VALU_DEP_1) | instskip(SKIP_1) | instid1(VALU_DEP_2)
	v_add_co_ci_u32_e64 v5, null, s1, 0, s0
	s_mov_b32 s1, 0
	v_add_co_u32 v4, vcc_lo, 0x4008, v4
	s_delay_alu instid0(VALU_DEP_2)
	v_add_co_ci_u32_e32 v5, vcc_lo, 0, v5, vcc_lo
	s_set_inst_prefetch_distance 0x1
	s_branch .LBB1_5
	.p2align	6
.LBB1_3:                                ;   in Loop: Header=BB1_5 Depth=1
	s_or_b32 exec_lo, exec_lo, s5
	s_delay_alu instid0(VALU_DEP_1)
	v_dual_mov_b32 v1, v6 :: v_dual_mov_b32 v2, v7
	v_mov_b32_e32 v3, v9
.LBB1_4:                                ;   in Loop: Header=BB1_5 Depth=1
	s_or_b32 exec_lo, exec_lo, s4
	v_add_nc_u32_e32 v8, 0x400, v8
	v_add_co_u32 v4, s0, 0x4000, v4
	s_delay_alu instid0(VALU_DEP_1) | instskip(NEXT) | instid1(VALU_DEP_3)
	v_add_co_ci_u32_e64 v5, s0, 0, v5, s0
	v_cmp_le_i32_e32 vcc_lo, s3, v8
	s_or_b32 s1, vcc_lo, s1
	s_delay_alu instid0(SALU_CYCLE_1)
	s_and_not1_b32 exec_lo, exec_lo, s1
	s_cbranch_execz .LBB1_8
.LBB1_5:                                ; =>This Inner Loop Header: Depth=1
	global_load_b64 v[6:7], v[4:5], off offset:-8
	s_mov_b32 s4, exec_lo
	s_waitcnt vmcnt(0)
	v_cmpx_ne_u64_e32 0, v[6:7]
	s_cbranch_execz .LBB1_4
; %bb.6:                                ;   in Loop: Header=BB1_5 Depth=1
	global_load_b32 v9, v[4:5], off
	v_cmp_ne_u64_e32 vcc_lo, 0, v[1:2]
	s_waitcnt vmcnt(0)
	v_cmp_ngt_f32_e64 s0, v9, v3
	s_delay_alu instid0(VALU_DEP_1) | instskip(NEXT) | instid1(SALU_CYCLE_1)
	s_and_b32 s0, vcc_lo, s0
	s_and_saveexec_b32 s5, s0
	s_cbranch_execz .LBB1_3
; %bb.7:                                ;   in Loop: Header=BB1_5 Depth=1
	v_cmp_lt_i64_e32 vcc_lo, v[6:7], v[1:2]
	v_cmp_eq_f32_e64 s0, v3, v9
	v_mov_b32_e32 v9, v3
	v_cndmask_b32_e32 v7, v2, v7, vcc_lo
	s_delay_alu instid0(VALU_DEP_3) | instskip(SKIP_1) | instid1(VALU_DEP_2)
	s_and_b32 vcc_lo, s0, vcc_lo
	v_cndmask_b32_e32 v6, v1, v6, vcc_lo
	v_cndmask_b32_e64 v7, v2, v7, s0
	s_branch .LBB1_3
.LBB1_8:
	s_set_inst_prefetch_distance 0x2
	s_or_b32 exec_lo, exec_lo, s1
.LBB1_9:
	s_delay_alu instid0(SALU_CYCLE_1)
	s_or_b32 exec_lo, exec_lo, s9
.LBB1_10:
	s_delay_alu instid0(SALU_CYCLE_1) | instskip(SKIP_2) | instid1(VALU_DEP_2)
	s_or_b32 exec_lo, exec_lo, s2
	v_and_b32_e32 v12, 31, v0
	v_cmp_gt_u32_e32 vcc_lo, 32, v0
	v_lshlrev_b32_e32 v6, 4, v12
	s_and_saveexec_b32 s0, vcc_lo
	s_cbranch_execz .LBB1_12
; %bb.11:
	v_mov_b32_e32 v4, 0
	s_delay_alu instid0(VALU_DEP_1)
	v_mov_b32_e32 v5, v4
	ds_store_b64 v6, v[4:5]
	ds_store_b32 v6, v4 offset:8
.LBB1_12:
	s_or_b32 exec_lo, exec_lo, s0
	v_mbcnt_lo_u32_b32 v11, -1, 0
	s_mov_b32 s2, exec_lo
	s_waitcnt vmcnt(0) lgkmcnt(0)
	s_barrier
	buffer_gl0_inv
	v_cmp_gt_u32_e64 s0, 16, v11
	v_mov_b32_e32 v13, v3
	s_delay_alu instid0(VALU_DEP_2) | instskip(NEXT) | instid1(VALU_DEP_1)
	v_cndmask_b32_e64 v4, 0, 1, s0
	v_lshlrev_b32_e32 v4, 4, v4
	s_delay_alu instid0(VALU_DEP_1)
	v_add_lshl_u32 v7, v4, v11, 2
	ds_bpermute_b32 v4, v7, v1
	ds_bpermute_b32 v5, v7, v2
	ds_bpermute_b32 v8, v7, v3
	s_waitcnt lgkmcnt(1)
	v_cmpx_ne_u64_e32 0, v[4:5]
	s_cbranch_execz .LBB1_16
; %bb.13:
	v_cmp_ne_u64_e64 s0, 0, v[1:2]
	s_waitcnt lgkmcnt(0)
	v_cmp_nlt_f32_e64 s1, v3, v8
	v_mov_b32_e32 v13, v8
	s_delay_alu instid0(VALU_DEP_2) | instskip(NEXT) | instid1(SALU_CYCLE_1)
	s_and_b32 s0, s0, s1
	s_and_saveexec_b32 s3, s0
; %bb.14:
	v_cmp_lt_i64_e64 s0, v[4:5], v[1:2]
	v_cmp_eq_f32_e64 s1, v3, v8
	v_mov_b32_e32 v13, v3
	v_mov_b32_e32 v8, v3
	s_delay_alu instid0(VALU_DEP_4) | instskip(NEXT) | instid1(VALU_DEP_4)
	v_cndmask_b32_e64 v5, v2, v5, s0
	s_and_b32 s0, s1, s0
	s_delay_alu instid0(SALU_CYCLE_1) | instskip(NEXT) | instid1(VALU_DEP_2)
	v_cndmask_b32_e64 v4, v1, v4, s0
	v_cndmask_b32_e64 v5, v2, v5, s1
; %bb.15:
	s_or_b32 exec_lo, exec_lo, s3
	s_delay_alu instid0(VALU_DEP_2) | instskip(NEXT) | instid1(VALU_DEP_2)
	v_mov_b32_e32 v1, v4
	v_dual_mov_b32 v3, v8 :: v_dual_mov_b32 v2, v5
.LBB1_16:
	s_or_b32 exec_lo, exec_lo, s2
	v_cmp_gt_u32_e64 s0, 24, v11
	s_mov_b32 s2, exec_lo
	s_delay_alu instid0(VALU_DEP_1) | instskip(NEXT) | instid1(VALU_DEP_1)
	v_cndmask_b32_e64 v4, 0, 1, s0
	v_lshlrev_b32_e32 v4, 3, v4
	s_waitcnt lgkmcnt(0)
	s_delay_alu instid0(VALU_DEP_1)
	v_add_lshl_u32 v8, v4, v11, 2
	ds_bpermute_b32 v4, v8, v1
	ds_bpermute_b32 v5, v8, v2
	;; [unrolled: 1-line block ×3, first 2 shown]
	s_waitcnt lgkmcnt(1)
	v_cmpx_ne_u64_e32 0, v[4:5]
	s_cbranch_execz .LBB1_20
; %bb.17:
	v_cmp_ne_u64_e64 s0, 0, v[1:2]
	s_waitcnt lgkmcnt(0)
	v_cmp_nlt_f32_e64 s1, v13, v9
	v_mov_b32_e32 v10, v9
	s_delay_alu instid0(VALU_DEP_2) | instskip(NEXT) | instid1(SALU_CYCLE_1)
	s_and_b32 s0, s0, s1
	s_and_saveexec_b32 s3, s0
; %bb.18:
	v_cmp_lt_i64_e64 s0, v[4:5], v[1:2]
	v_cmp_eq_f32_e64 s1, v13, v9
	v_dual_mov_b32 v10, v13 :: v_dual_mov_b32 v9, v3
	s_delay_alu instid0(VALU_DEP_3) | instskip(NEXT) | instid1(VALU_DEP_3)
	v_cndmask_b32_e64 v5, v2, v5, s0
	s_and_b32 s0, s1, s0
	s_delay_alu instid0(SALU_CYCLE_1) | instskip(NEXT) | instid1(VALU_DEP_2)
	v_cndmask_b32_e64 v4, v1, v4, s0
	v_cndmask_b32_e64 v5, v2, v5, s1
; %bb.19:
	s_or_b32 exec_lo, exec_lo, s3
	v_mov_b32_e32 v3, v9
	s_delay_alu instid0(VALU_DEP_2)
	v_dual_mov_b32 v1, v4 :: v_dual_mov_b32 v2, v5
	v_mov_b32_e32 v13, v10
.LBB1_20:
	s_or_b32 exec_lo, exec_lo, s2
	v_cmp_gt_u32_e64 s0, 28, v11
	s_mov_b32 s2, exec_lo
	s_delay_alu instid0(VALU_DEP_1) | instskip(NEXT) | instid1(VALU_DEP_1)
	v_cndmask_b32_e64 v4, 0, 1, s0
	v_lshlrev_b32_e32 v4, 2, v4
	s_waitcnt lgkmcnt(0)
	s_delay_alu instid0(VALU_DEP_1)
	v_add_lshl_u32 v9, v4, v11, 2
	ds_bpermute_b32 v4, v9, v1
	ds_bpermute_b32 v5, v9, v2
	;; [unrolled: 1-line block ×3, first 2 shown]
	s_waitcnt lgkmcnt(1)
	v_cmpx_ne_u64_e32 0, v[4:5]
	s_cbranch_execz .LBB1_24
; %bb.21:
	v_cmp_ne_u64_e64 s0, 0, v[1:2]
	s_waitcnt lgkmcnt(0)
	v_cmp_nlt_f32_e64 s1, v13, v10
	v_mov_b32_e32 v14, v10
	s_delay_alu instid0(VALU_DEP_2) | instskip(NEXT) | instid1(SALU_CYCLE_1)
	s_and_b32 s0, s0, s1
	s_and_saveexec_b32 s3, s0
; %bb.22:
	v_cmp_lt_i64_e64 s0, v[4:5], v[1:2]
	v_cmp_eq_f32_e64 s1, v13, v10
	v_mov_b32_e32 v14, v13
	v_mov_b32_e32 v10, v3
	s_delay_alu instid0(VALU_DEP_4) | instskip(NEXT) | instid1(VALU_DEP_4)
	v_cndmask_b32_e64 v5, v2, v5, s0
	s_and_b32 s0, s1, s0
	s_delay_alu instid0(SALU_CYCLE_1) | instskip(NEXT) | instid1(VALU_DEP_2)
	v_cndmask_b32_e64 v4, v1, v4, s0
	v_cndmask_b32_e64 v5, v2, v5, s1
; %bb.23:
	s_or_b32 exec_lo, exec_lo, s3
	s_delay_alu instid0(VALU_DEP_2) | instskip(NEXT) | instid1(VALU_DEP_2)
	v_mov_b32_e32 v1, v4
	v_dual_mov_b32 v3, v10 :: v_dual_mov_b32 v2, v5
	v_mov_b32_e32 v13, v14
.LBB1_24:
	s_or_b32 exec_lo, exec_lo, s2
	v_cmp_gt_u32_e64 s0, 30, v11
	s_mov_b32 s2, exec_lo
	s_delay_alu instid0(VALU_DEP_1) | instskip(NEXT) | instid1(VALU_DEP_1)
	v_cndmask_b32_e64 v4, 0, 1, s0
	v_lshlrev_b32_e32 v4, 1, v4
	s_waitcnt lgkmcnt(0)
	s_delay_alu instid0(VALU_DEP_1)
	v_add_lshl_u32 v10, v4, v11, 2
	ds_bpermute_b32 v4, v10, v1
	ds_bpermute_b32 v5, v10, v2
	ds_bpermute_b32 v14, v10, v3
	s_waitcnt lgkmcnt(1)
	v_cmpx_ne_u64_e32 0, v[4:5]
	s_cbranch_execz .LBB1_28
; %bb.25:
	v_cmp_ne_u64_e64 s0, 0, v[1:2]
	s_waitcnt lgkmcnt(0)
	v_cmp_nlt_f32_e64 s1, v13, v14
	v_mov_b32_e32 v15, v14
	s_delay_alu instid0(VALU_DEP_2) | instskip(NEXT) | instid1(SALU_CYCLE_1)
	s_and_b32 s0, s0, s1
	s_and_saveexec_b32 s3, s0
; %bb.26:
	v_cmp_lt_i64_e64 s0, v[4:5], v[1:2]
	v_cmp_eq_f32_e64 s1, v13, v14
	v_dual_mov_b32 v15, v13 :: v_dual_mov_b32 v14, v3
	s_delay_alu instid0(VALU_DEP_3) | instskip(NEXT) | instid1(VALU_DEP_3)
	v_cndmask_b32_e64 v5, v2, v5, s0
	s_and_b32 s0, s1, s0
	s_delay_alu instid0(SALU_CYCLE_1) | instskip(NEXT) | instid1(VALU_DEP_2)
	v_cndmask_b32_e64 v4, v1, v4, s0
	v_cndmask_b32_e64 v5, v2, v5, s1
; %bb.27:
	s_or_b32 exec_lo, exec_lo, s3
	s_delay_alu instid0(VALU_DEP_2) | instskip(NEXT) | instid1(VALU_DEP_2)
	v_mov_b32_e32 v1, v4
	v_dual_mov_b32 v3, v14 :: v_dual_mov_b32 v2, v5
	v_mov_b32_e32 v13, v15
.LBB1_28:
	s_or_b32 exec_lo, exec_lo, s2
	v_cmp_ne_u32_e64 s0, 31, v11
	s_mov_b32 s4, exec_lo
	s_delay_alu instid0(VALU_DEP_1) | instskip(NEXT) | instid1(VALU_DEP_1)
	v_add_co_ci_u32_e64 v4, s0, 0, v11, s0
	v_lshlrev_b32_e32 v11, 2, v4
	ds_bpermute_b32 v4, v11, v1
	ds_bpermute_b32 v5, v11, v2
	;; [unrolled: 1-line block ×3, first 2 shown]
	s_waitcnt lgkmcnt(1)
	v_cmpx_ne_u64_e32 0, v[4:5]
	s_cbranch_execz .LBB1_30
; %bb.29:
	v_cmp_lt_i64_e64 s0, v[4:5], v[1:2]
	s_waitcnt lgkmcnt(0)
	v_cmp_eq_f32_e64 s1, v13, v3
	v_cmp_eq_u64_e64 s2, 0, v[1:2]
	v_cmp_lt_f32_e64 s3, v13, v3
	s_delay_alu instid0(VALU_DEP_3) | instskip(NEXT) | instid1(VALU_DEP_1)
	s_and_b32 s0, s1, s0
	s_or_b32 s1, s2, s3
	v_cndmask_b32_e64 v2, v2, v5, s0
	s_or_b32 s0, s1, s0
	v_cndmask_b32_e64 v13, v13, v3, s1
	v_cndmask_b32_e64 v1, v1, v4, s0
	s_delay_alu instid0(VALU_DEP_3)
	v_cndmask_b32_e64 v2, v2, v5, s1
.LBB1_30:
	s_or_b32 exec_lo, exec_lo, s4
	s_delay_alu instid0(SALU_CYCLE_1)
	s_mov_b32 s1, exec_lo
	v_cmpx_eq_u32_e32 0, v12
	s_cbranch_execz .LBB1_32
; %bb.31:
	s_waitcnt lgkmcnt(0)
	v_lshrrev_b32_e32 v3, 1, v0
	s_delay_alu instid0(VALU_DEP_1)
	v_and_b32_e32 v3, 0x1f0, v3
	ds_store_b64 v3, v[1:2]
	ds_store_b32 v3, v13 offset:8
.LBB1_32:
	s_or_b32 exec_lo, exec_lo, s1
	v_mov_b32_e32 v1, 0
	v_dual_mov_b32 v2, 0 :: v_dual_mov_b32 v5, 0
	s_waitcnt lgkmcnt(0)
	s_barrier
	buffer_gl0_inv
	s_and_saveexec_b32 s0, vcc_lo
	s_cbranch_execz .LBB1_34
; %bb.33:
	ds_load_b64 v[1:2], v6
	ds_load_b32 v5, v6 offset:8
.LBB1_34:
	s_or_b32 exec_lo, exec_lo, s0
	s_and_saveexec_b32 s3, vcc_lo
	s_cbranch_execz .LBB1_54
; %bb.35:
	s_waitcnt lgkmcnt(1)
	ds_bpermute_b32 v3, v7, v1
	ds_bpermute_b32 v4, v7, v2
	s_waitcnt lgkmcnt(2)
	ds_bpermute_b32 v7, v7, v5
	v_mov_b32_e32 v6, v5
	s_mov_b32 s1, exec_lo
	s_waitcnt lgkmcnt(1)
	v_cmpx_ne_u64_e32 0, v[3:4]
	s_cbranch_execz .LBB1_39
; %bb.36:
	v_cmp_ne_u64_e32 vcc_lo, 0, v[1:2]
	s_waitcnt lgkmcnt(0)
	v_cmp_nlt_f32_e64 s0, v5, v7
	s_delay_alu instid0(VALU_DEP_1) | instskip(NEXT) | instid1(SALU_CYCLE_1)
	s_and_b32 s0, vcc_lo, s0
	s_and_saveexec_b32 s2, s0
; %bb.37:
	v_cmp_lt_i64_e32 vcc_lo, v[3:4], v[1:2]
	v_cmp_eq_f32_e64 s0, v5, v7
	v_dual_mov_b32 v7, v5 :: v_dual_cndmask_b32 v4, v2, v4
	s_delay_alu instid0(VALU_DEP_2) | instskip(SKIP_1) | instid1(VALU_DEP_2)
	s_and_b32 vcc_lo, s0, vcc_lo
	v_cndmask_b32_e32 v3, v1, v3, vcc_lo
	v_cndmask_b32_e64 v4, v2, v4, s0
; %bb.38:
	s_or_b32 exec_lo, exec_lo, s2
	s_delay_alu instid0(VALU_DEP_2) | instskip(NEXT) | instid1(VALU_DEP_2)
	v_mov_b32_e32 v1, v3
	v_dual_mov_b32 v5, v7 :: v_dual_mov_b32 v2, v4
	v_mov_b32_e32 v6, v7
.LBB1_39:
	s_or_b32 exec_lo, exec_lo, s1
	ds_bpermute_b32 v3, v8, v1
	ds_bpermute_b32 v4, v8, v2
	s_waitcnt lgkmcnt(2)
	ds_bpermute_b32 v7, v8, v5
	s_mov_b32 s1, exec_lo
	s_waitcnt lgkmcnt(1)
	v_cmpx_ne_u64_e32 0, v[3:4]
	s_cbranch_execz .LBB1_43
; %bb.40:
	v_cmp_ne_u64_e32 vcc_lo, 0, v[1:2]
	s_waitcnt lgkmcnt(0)
	v_cmp_nlt_f32_e64 s0, v6, v7
	v_mov_b32_e32 v8, v7
	s_delay_alu instid0(VALU_DEP_2) | instskip(NEXT) | instid1(SALU_CYCLE_1)
	s_and_b32 s0, vcc_lo, s0
	s_and_saveexec_b32 s2, s0
; %bb.41:
	v_cmp_lt_i64_e32 vcc_lo, v[3:4], v[1:2]
	v_cmp_eq_f32_e64 s0, v6, v7
	v_dual_mov_b32 v8, v6 :: v_dual_mov_b32 v7, v5
	v_cndmask_b32_e32 v4, v2, v4, vcc_lo
	s_delay_alu instid0(VALU_DEP_3) | instskip(SKIP_1) | instid1(VALU_DEP_2)
	s_and_b32 vcc_lo, s0, vcc_lo
	v_cndmask_b32_e32 v3, v1, v3, vcc_lo
	v_cndmask_b32_e64 v4, v2, v4, s0
; %bb.42:
	s_or_b32 exec_lo, exec_lo, s2
	s_delay_alu instid0(VALU_DEP_2) | instskip(NEXT) | instid1(VALU_DEP_2)
	v_dual_mov_b32 v1, v3 :: v_dual_mov_b32 v6, v8
	v_dual_mov_b32 v5, v7 :: v_dual_mov_b32 v2, v4
.LBB1_43:
	s_or_b32 exec_lo, exec_lo, s1
	ds_bpermute_b32 v3, v9, v1
	ds_bpermute_b32 v4, v9, v2
	s_waitcnt lgkmcnt(2)
	ds_bpermute_b32 v7, v9, v5
	s_mov_b32 s1, exec_lo
	s_waitcnt lgkmcnt(1)
	v_cmpx_ne_u64_e32 0, v[3:4]
	s_cbranch_execz .LBB1_47
; %bb.44:
	v_cmp_ne_u64_e32 vcc_lo, 0, v[1:2]
	s_waitcnt lgkmcnt(0)
	v_cmp_nlt_f32_e64 s0, v6, v7
	v_mov_b32_e32 v8, v7
	s_delay_alu instid0(VALU_DEP_2) | instskip(NEXT) | instid1(SALU_CYCLE_1)
	s_and_b32 s0, vcc_lo, s0
	s_and_saveexec_b32 s2, s0
; %bb.45:
	v_cmp_lt_i64_e32 vcc_lo, v[3:4], v[1:2]
	v_cmp_eq_f32_e64 s0, v6, v7
	v_dual_mov_b32 v8, v6 :: v_dual_mov_b32 v7, v5
	v_cndmask_b32_e32 v4, v2, v4, vcc_lo
	s_delay_alu instid0(VALU_DEP_3) | instskip(SKIP_1) | instid1(VALU_DEP_2)
	s_and_b32 vcc_lo, s0, vcc_lo
	v_cndmask_b32_e32 v3, v1, v3, vcc_lo
	v_cndmask_b32_e64 v4, v2, v4, s0
; %bb.46:
	s_or_b32 exec_lo, exec_lo, s2
	s_delay_alu instid0(VALU_DEP_2) | instskip(NEXT) | instid1(VALU_DEP_2)
	v_dual_mov_b32 v1, v3 :: v_dual_mov_b32 v6, v8
	v_dual_mov_b32 v5, v7 :: v_dual_mov_b32 v2, v4
.LBB1_47:
	s_or_b32 exec_lo, exec_lo, s1
	ds_bpermute_b32 v3, v10, v1
	ds_bpermute_b32 v4, v10, v2
	s_waitcnt lgkmcnt(2)
	ds_bpermute_b32 v7, v10, v5
	s_mov_b32 s1, exec_lo
	s_waitcnt lgkmcnt(1)
	v_cmpx_ne_u64_e32 0, v[3:4]
	s_cbranch_execz .LBB1_51
; %bb.48:
	v_cmp_ne_u64_e32 vcc_lo, 0, v[1:2]
	s_waitcnt lgkmcnt(0)
	v_cmp_nlt_f32_e64 s0, v6, v7
	v_mov_b32_e32 v8, v7
	s_delay_alu instid0(VALU_DEP_2) | instskip(NEXT) | instid1(SALU_CYCLE_1)
	s_and_b32 s0, vcc_lo, s0
	s_and_saveexec_b32 s2, s0
; %bb.49:
	v_cmp_lt_i64_e32 vcc_lo, v[3:4], v[1:2]
	v_cmp_eq_f32_e64 s0, v6, v7
	v_dual_mov_b32 v8, v6 :: v_dual_mov_b32 v7, v5
	v_cndmask_b32_e32 v4, v2, v4, vcc_lo
	s_delay_alu instid0(VALU_DEP_3) | instskip(SKIP_1) | instid1(VALU_DEP_2)
	s_and_b32 vcc_lo, s0, vcc_lo
	v_cndmask_b32_e32 v3, v1, v3, vcc_lo
	v_cndmask_b32_e64 v4, v2, v4, s0
; %bb.50:
	s_or_b32 exec_lo, exec_lo, s2
	s_delay_alu instid0(VALU_DEP_2) | instskip(NEXT) | instid1(VALU_DEP_2)
	v_dual_mov_b32 v1, v3 :: v_dual_mov_b32 v6, v8
	v_dual_mov_b32 v5, v7 :: v_dual_mov_b32 v2, v4
.LBB1_51:
	s_or_b32 exec_lo, exec_lo, s1
	ds_bpermute_b32 v3, v11, v1
	ds_bpermute_b32 v4, v11, v2
	;; [unrolled: 1-line block ×3, first 2 shown]
	s_mov_b32 s4, exec_lo
	s_waitcnt lgkmcnt(1)
	v_cmpx_ne_u64_e32 0, v[3:4]
	s_cbranch_execz .LBB1_53
; %bb.52:
	v_cmp_lt_i64_e32 vcc_lo, v[3:4], v[1:2]
	s_waitcnt lgkmcnt(0)
	v_cmp_eq_f32_e64 s0, v6, v5
	v_cmp_eq_u64_e64 s1, 0, v[1:2]
	v_cmp_lt_f32_e64 s2, v6, v5
	s_delay_alu instid0(VALU_DEP_3) | instskip(NEXT) | instid1(VALU_DEP_1)
	s_and_b32 vcc_lo, s0, vcc_lo
	s_or_b32 s0, s1, s2
	v_cndmask_b32_e32 v2, v2, v4, vcc_lo
	s_or_b32 vcc_lo, s0, vcc_lo
	v_cndmask_b32_e32 v1, v1, v3, vcc_lo
	s_delay_alu instid0(VALU_DEP_2)
	v_cndmask_b32_e64 v2, v2, v4, s0
.LBB1_53:
	s_or_b32 exec_lo, exec_lo, s4
.LBB1_54:
	s_delay_alu instid0(SALU_CYCLE_1)
	s_or_b32 exec_lo, exec_lo, s3
	s_mov_b32 s9, 0
	s_mov_b32 s0, exec_lo
	v_cmpx_eq_u32_e32 0, v0
	s_cbranch_execz .LBB1_56
; %bb.55:
	s_lshl_b64 s[0:1], s[8:9], 3
	v_mov_b32_e32 v0, 0
	s_add_u32 s0, s6, s0
	s_addc_u32 s1, s7, s1
	s_waitcnt lgkmcnt(1)
	global_store_b64 v0, v[1:2], s[0:1]
.LBB1_56:
	s_nop 0
	s_sendmsg sendmsg(MSG_DEALLOC_VGPRS)
	s_endpgm
	.section	.rodata,"a",@progbits
	.p2align	6, 0x0
	.amdhsa_kernel _ZL35rocblas_iamax_iamin_kernel_part2_64ILi1024E22rocblas_reduce_amax_6424rocblas_index_64_value_tIfElEviPT1_PT2_
		.amdhsa_group_segment_fixed_size 512
		.amdhsa_private_segment_fixed_size 0
		.amdhsa_kernarg_size 24
		.amdhsa_user_sgpr_count 15
		.amdhsa_user_sgpr_dispatch_ptr 0
		.amdhsa_user_sgpr_queue_ptr 0
		.amdhsa_user_sgpr_kernarg_segment_ptr 1
		.amdhsa_user_sgpr_dispatch_id 0
		.amdhsa_user_sgpr_private_segment_size 0
		.amdhsa_wavefront_size32 1
		.amdhsa_uses_dynamic_stack 0
		.amdhsa_enable_private_segment 0
		.amdhsa_system_sgpr_workgroup_id_x 1
		.amdhsa_system_sgpr_workgroup_id_y 0
		.amdhsa_system_sgpr_workgroup_id_z 0
		.amdhsa_system_sgpr_workgroup_info 0
		.amdhsa_system_vgpr_workitem_id 0
		.amdhsa_next_free_vgpr 16
		.amdhsa_next_free_sgpr 16
		.amdhsa_reserve_vcc 1
		.amdhsa_float_round_mode_32 0
		.amdhsa_float_round_mode_16_64 0
		.amdhsa_float_denorm_mode_32 3
		.amdhsa_float_denorm_mode_16_64 3
		.amdhsa_dx10_clamp 1
		.amdhsa_ieee_mode 1
		.amdhsa_fp16_overflow 0
		.amdhsa_workgroup_processor_mode 1
		.amdhsa_memory_ordered 1
		.amdhsa_forward_progress 0
		.amdhsa_shared_vgpr_count 0
		.amdhsa_exception_fp_ieee_invalid_op 0
		.amdhsa_exception_fp_denorm_src 0
		.amdhsa_exception_fp_ieee_div_zero 0
		.amdhsa_exception_fp_ieee_overflow 0
		.amdhsa_exception_fp_ieee_underflow 0
		.amdhsa_exception_fp_ieee_inexact 0
		.amdhsa_exception_int_div_zero 0
	.end_amdhsa_kernel
	.section	.text._ZL35rocblas_iamax_iamin_kernel_part2_64ILi1024E22rocblas_reduce_amax_6424rocblas_index_64_value_tIfElEviPT1_PT2_,"axG",@progbits,_ZL35rocblas_iamax_iamin_kernel_part2_64ILi1024E22rocblas_reduce_amax_6424rocblas_index_64_value_tIfElEviPT1_PT2_,comdat
.Lfunc_end1:
	.size	_ZL35rocblas_iamax_iamin_kernel_part2_64ILi1024E22rocblas_reduce_amax_6424rocblas_index_64_value_tIfElEviPT1_PT2_, .Lfunc_end1-_ZL35rocblas_iamax_iamin_kernel_part2_64ILi1024E22rocblas_reduce_amax_6424rocblas_index_64_value_tIfElEviPT1_PT2_
                                        ; -- End function
	.section	.AMDGPU.csdata,"",@progbits
; Kernel info:
; codeLenInByte = 2308
; NumSgprs: 18
; NumVgprs: 16
; ScratchSize: 0
; MemoryBound: 0
; FloatMode: 240
; IeeeMode: 1
; LDSByteSize: 512 bytes/workgroup (compile time only)
; SGPRBlocks: 2
; VGPRBlocks: 1
; NumSGPRsForWavesPerEU: 18
; NumVGPRsForWavesPerEU: 16
; Occupancy: 16
; WaveLimiterHint : 0
; COMPUTE_PGM_RSRC2:SCRATCH_EN: 0
; COMPUTE_PGM_RSRC2:USER_SGPR: 15
; COMPUTE_PGM_RSRC2:TRAP_HANDLER: 0
; COMPUTE_PGM_RSRC2:TGID_X_EN: 1
; COMPUTE_PGM_RSRC2:TGID_Y_EN: 0
; COMPUTE_PGM_RSRC2:TGID_Z_EN: 0
; COMPUTE_PGM_RSRC2:TIDIG_COMP_CNT: 0
	.section	.text._ZL35rocblas_iamax_iamin_kernel_part1_64ILi1024E26rocblas_fetch_amax_amin_64IdE22rocblas_reduce_amax_64PKd24rocblas_index_64_value_tIdEEvlT2_lllPT3_,"axG",@progbits,_ZL35rocblas_iamax_iamin_kernel_part1_64ILi1024E26rocblas_fetch_amax_amin_64IdE22rocblas_reduce_amax_64PKd24rocblas_index_64_value_tIdEEvlT2_lllPT3_,comdat
	.globl	_ZL35rocblas_iamax_iamin_kernel_part1_64ILi1024E26rocblas_fetch_amax_amin_64IdE22rocblas_reduce_amax_64PKd24rocblas_index_64_value_tIdEEvlT2_lllPT3_ ; -- Begin function _ZL35rocblas_iamax_iamin_kernel_part1_64ILi1024E26rocblas_fetch_amax_amin_64IdE22rocblas_reduce_amax_64PKd24rocblas_index_64_value_tIdEEvlT2_lllPT3_
	.p2align	8
	.type	_ZL35rocblas_iamax_iamin_kernel_part1_64ILi1024E26rocblas_fetch_amax_amin_64IdE22rocblas_reduce_amax_64PKd24rocblas_index_64_value_tIdEEvlT2_lllPT3_,@function
_ZL35rocblas_iamax_iamin_kernel_part1_64ILi1024E26rocblas_fetch_amax_amin_64IdE22rocblas_reduce_amax_64PKd24rocblas_index_64_value_tIdEEvlT2_lllPT3_: ; @_ZL35rocblas_iamax_iamin_kernel_part1_64ILi1024E26rocblas_fetch_amax_amin_64IdE22rocblas_reduce_amax_64PKd24rocblas_index_64_value_tIdEEvlT2_lllPT3_
; %bb.0:
	s_clause 0x1
	s_load_b256 s[16:23], s[0:1], 0x0
	s_load_b128 s[8:11], s[0:1], 0x20
	s_mov_b32 s2, s15
	s_waitcnt lgkmcnt(0)
	v_cmp_lt_i64_e64 s3, s[16:17], 1
	s_delay_alu instid0(VALU_DEP_1)
	s_and_b32 vcc_lo, exec_lo, s3
	s_cbranch_vccnz .LBB2_53
; %bb.1:
	v_mbcnt_lo_u32_b32 v3, -1, 0
	v_lshl_or_b32 v23, s14, 10, v0
	s_load_b32 s5, s[0:1], 0x30
	s_mul_i32 s6, s9, s2
	s_mul_hi_u32 s7, s8, s2
	v_cmp_gt_u32_e32 vcc_lo, 16, v3
	s_add_i32 s7, s7, s6
	s_mul_i32 s6, s8, s2
	s_lshl_b64 s[8:9], s[20:21], 3
	s_lshl_b64 s[6:7], s[6:7], 3
	v_cndmask_b32_e64 v1, 0, 1, vcc_lo
	v_cmp_gt_u32_e32 vcc_lo, 24, v3
	v_cmp_gt_u32_e64 s3, 32, v0
	s_mov_b64 s[12:13], 0
                                        ; implicit-def: $vgpr9_vgpr10
	v_mov_b32_e32 v15, 0
	v_dual_mov_b32 v16, 0 :: v_dual_lshlrev_b32 v1, 4, v1
	v_cndmask_b32_e64 v2, 0, 1, vcc_lo
	v_cmp_gt_u32_e32 vcc_lo, 28, v3
	s_delay_alu instid0(VALU_DEP_3) | instskip(NEXT) | instid1(VALU_DEP_3)
	v_add_lshl_u32 v25, v1, v3, 2
	v_lshlrev_b32_e32 v2, 3, v2
	v_cndmask_b32_e64 v4, 0, 1, vcc_lo
	v_cmp_gt_u32_e32 vcc_lo, 30, v3
	s_waitcnt lgkmcnt(0)
	s_lshl_b32 s15, s5, 10
	s_add_u32 s5, s18, s8
	v_add_lshl_u32 v26, v2, v3, 2
	v_lshlrev_b32_e32 v4, 2, v4
	v_cndmask_b32_e64 v6, 0, 1, vcc_lo
	v_mad_u64_u32 v[1:2], null, s22, v23, 0
	v_cmp_ne_u32_e32 vcc_lo, 31, v3
	s_delay_alu instid0(VALU_DEP_4) | instskip(NEXT) | instid1(VALU_DEP_4)
	v_add_lshl_u32 v27, v4, v3, 2
	v_lshlrev_b32_e32 v6, 1, v6
	s_addc_u32 s8, s19, s9
	s_add_u32 s5, s5, s6
	v_add_co_ci_u32_e32 v7, vcc_lo, 0, v3, vcc_lo
	s_delay_alu instid0(VALU_DEP_2)
	v_add_lshl_u32 v28, v6, v3, 2
	v_mad_u64_u32 v[3:4], null, s23, v23, v[2:3]
	v_and_b32_e32 v5, 31, v0
	v_lshrrev_b32_e32 v6, 1, v0
	s_addc_u32 s6, s8, s7
	v_cmp_ne_u32_e32 vcc_lo, 0, v0
	s_mul_i32 s7, s23, s15
	s_mul_hi_u32 s8, s22, s15
	s_delay_alu instid0(VALU_DEP_4)
	v_mov_b32_e32 v2, v3
	v_lshlrev_b32_e32 v24, 4, v5
	v_lshlrev_b32_e32 v29, 2, v7
	v_cmp_eq_u32_e64 s4, 0, v5
	v_and_b32_e32 v30, 0x1f0, v6
	v_lshlrev_b64 v[1:2], 3, v[1:2]
	v_mov_b32_e32 v5, 0
	s_add_i32 s7, s8, s7
	s_xor_b32 s18, vcc_lo, -1
	s_delay_alu instid0(VALU_DEP_2) | instskip(NEXT) | instid1(VALU_DEP_1)
	v_add_co_u32 v17, s5, s5, v1
	v_add_co_ci_u32_e64 v18, s5, s6, v2, s5
	v_dual_mov_b32 v1, v15 :: v_dual_mov_b32 v2, v16
	s_mul_i32 s6, s22, s15
	s_delay_alu instid0(SALU_CYCLE_1)
	s_lshl_b64 s[8:9], s[6:7], 3
	s_branch .LBB2_4
.LBB2_2:                                ;   in Loop: Header=BB2_4 Depth=1
	s_or_b32 exec_lo, exec_lo, s7
	s_delay_alu instid0(VALU_DEP_1)
	v_dual_mov_b32 v1, v7 :: v_dual_mov_b32 v2, v8
	v_dual_mov_b32 v3, v11 :: v_dual_mov_b32 v4, v12
.LBB2_3:                                ;   in Loop: Header=BB2_4 Depth=1
	s_or_b32 exec_lo, exec_lo, s6
	s_add_u32 s12, s12, s15
	s_addc_u32 s13, s13, 0
	v_add_co_u32 v17, vcc_lo, v17, s8
	v_cmp_ge_i64_e64 s5, s[12:13], s[16:17]
	v_add_co_ci_u32_e32 v18, vcc_lo, s9, v18, vcc_lo
	s_delay_alu instid0(VALU_DEP_2)
	s_and_b32 vcc_lo, exec_lo, s5
	s_cbranch_vccnz .LBB2_54
.LBB2_4:                                ; =>This Inner Loop Header: Depth=1
	v_add_co_u32 v6, s5, v23, s12
	s_delay_alu instid0(VALU_DEP_1) | instskip(SKIP_2) | instid1(VALU_DEP_2)
	v_add_co_ci_u32_e64 v7, null, 0, s13, s5
	v_dual_mov_b32 v11, v15 :: v_dual_mov_b32 v12, v16
	s_mov_b32 s6, exec_lo
	v_cmpx_gt_i64_e64 s[16:17], v[6:7]
	s_cbranch_execz .LBB2_6
; %bb.5:                                ;   in Loop: Header=BB2_4 Depth=1
	global_load_b64 v[8:9], v[17:18], off
	v_add_co_u32 v11, s5, v6, 1
	s_delay_alu instid0(VALU_DEP_1) | instskip(SKIP_3) | instid1(VALU_DEP_1)
	v_add_co_ci_u32_e64 v12, s5, 0, v7, s5
	s_waitcnt vmcnt(0)
	v_cmp_gt_f64_e32 vcc_lo, 0, v[8:9]
	v_xor_b32_e32 v10, 0x80000000, v9
	v_dual_cndmask_b32 v10, v9, v10 :: v_dual_cndmask_b32 v9, v8, v8
.LBB2_6:                                ;   in Loop: Header=BB2_4 Depth=1
	s_or_b32 exec_lo, exec_lo, s6
	s_and_saveexec_b32 s5, s3
	s_cbranch_execz .LBB2_8
; %bb.7:                                ;   in Loop: Header=BB2_4 Depth=1
	v_mov_b32_e32 v6, v5
	v_mov_b32_e32 v7, v5
	;; [unrolled: 1-line block ×3, first 2 shown]
	ds_store_b128 v24, v[5:8]
.LBB2_8:                                ;   in Loop: Header=BB2_4 Depth=1
	s_or_b32 exec_lo, exec_lo, s5
	ds_bpermute_b32 v6, v25, v11
	ds_bpermute_b32 v7, v25, v12
	;; [unrolled: 1-line block ×4, first 2 shown]
	v_dual_mov_b32 v14, v10 :: v_dual_mov_b32 v13, v9
	s_mov_b32 s6, exec_lo
	s_waitcnt lgkmcnt(0)
	s_barrier
	buffer_gl0_inv
	v_cmpx_ne_u64_e32 0, v[6:7]
	s_cbranch_execz .LBB2_12
; %bb.9:                                ;   in Loop: Header=BB2_4 Depth=1
	v_cmp_nlt_f64_e32 vcc_lo, v[9:10], v[19:20]
	v_cmp_ne_u64_e64 s5, 0, v[11:12]
	v_dual_mov_b32 v13, v19 :: v_dual_mov_b32 v14, v20
	s_delay_alu instid0(VALU_DEP_2) | instskip(NEXT) | instid1(SALU_CYCLE_1)
	s_and_b32 s5, s5, vcc_lo
	s_and_saveexec_b32 s7, s5
; %bb.10:                               ;   in Loop: Header=BB2_4 Depth=1
	v_cmp_eq_f64_e64 s5, v[9:10], v[19:20]
	v_cmp_lt_i64_e32 vcc_lo, v[6:7], v[11:12]
	v_dual_mov_b32 v19, v9 :: v_dual_mov_b32 v20, v10
	v_dual_mov_b32 v14, v10 :: v_dual_cndmask_b32 v7, v12, v7
	s_delay_alu instid0(VALU_DEP_4) | instskip(SKIP_1) | instid1(VALU_DEP_2)
	s_and_b32 vcc_lo, s5, vcc_lo
	v_dual_mov_b32 v13, v9 :: v_dual_cndmask_b32 v6, v11, v6
	v_cndmask_b32_e64 v7, v12, v7, s5
; %bb.11:                               ;   in Loop: Header=BB2_4 Depth=1
	s_or_b32 exec_lo, exec_lo, s7
	v_dual_mov_b32 v10, v20 :: v_dual_mov_b32 v9, v19
	s_delay_alu instid0(VALU_DEP_2)
	v_dual_mov_b32 v12, v7 :: v_dual_mov_b32 v11, v6
.LBB2_12:                               ;   in Loop: Header=BB2_4 Depth=1
	s_or_b32 exec_lo, exec_lo, s6
	ds_bpermute_b32 v6, v26, v11
	ds_bpermute_b32 v7, v26, v12
	;; [unrolled: 1-line block ×4, first 2 shown]
	s_mov_b32 s6, exec_lo
	s_waitcnt lgkmcnt(2)
	v_cmpx_ne_u64_e32 0, v[6:7]
	s_cbranch_execz .LBB2_16
; %bb.13:                               ;   in Loop: Header=BB2_4 Depth=1
	s_waitcnt lgkmcnt(0)
	v_cmp_nlt_f64_e32 vcc_lo, v[13:14], v[19:20]
	v_cmp_ne_u64_e64 s5, 0, v[11:12]
	v_dual_mov_b32 v22, v20 :: v_dual_mov_b32 v21, v19
	s_delay_alu instid0(VALU_DEP_2) | instskip(NEXT) | instid1(SALU_CYCLE_1)
	s_and_b32 s5, s5, vcc_lo
	s_and_saveexec_b32 s7, s5
; %bb.14:                               ;   in Loop: Header=BB2_4 Depth=1
	v_cmp_eq_f64_e64 s5, v[13:14], v[19:20]
	v_cmp_lt_i64_e32 vcc_lo, v[6:7], v[11:12]
	v_dual_mov_b32 v19, v9 :: v_dual_mov_b32 v20, v10
	v_dual_mov_b32 v22, v14 :: v_dual_cndmask_b32 v7, v12, v7
	s_delay_alu instid0(VALU_DEP_4) | instskip(SKIP_1) | instid1(VALU_DEP_2)
	s_and_b32 vcc_lo, s5, vcc_lo
	v_dual_mov_b32 v21, v13 :: v_dual_cndmask_b32 v6, v11, v6
	v_cndmask_b32_e64 v7, v12, v7, s5
; %bb.15:                               ;   in Loop: Header=BB2_4 Depth=1
	s_or_b32 exec_lo, exec_lo, s7
	v_dual_mov_b32 v10, v20 :: v_dual_mov_b32 v9, v19
	s_delay_alu instid0(VALU_DEP_2)
	v_dual_mov_b32 v12, v7 :: v_dual_mov_b32 v11, v6
	v_dual_mov_b32 v13, v21 :: v_dual_mov_b32 v14, v22
.LBB2_16:                               ;   in Loop: Header=BB2_4 Depth=1
	s_or_b32 exec_lo, exec_lo, s6
	ds_bpermute_b32 v6, v27, v11
	ds_bpermute_b32 v7, v27, v12
	s_waitcnt lgkmcnt(3)
	ds_bpermute_b32 v19, v27, v9
	s_waitcnt lgkmcnt(3)
	ds_bpermute_b32 v20, v27, v10
	s_mov_b32 s6, exec_lo
	s_waitcnt lgkmcnt(2)
	v_cmpx_ne_u64_e32 0, v[6:7]
	s_cbranch_execz .LBB2_20
; %bb.17:                               ;   in Loop: Header=BB2_4 Depth=1
	s_waitcnt lgkmcnt(0)
	v_cmp_nlt_f64_e32 vcc_lo, v[13:14], v[19:20]
	v_cmp_ne_u64_e64 s5, 0, v[11:12]
	v_dual_mov_b32 v22, v20 :: v_dual_mov_b32 v21, v19
	s_delay_alu instid0(VALU_DEP_2) | instskip(NEXT) | instid1(SALU_CYCLE_1)
	s_and_b32 s5, s5, vcc_lo
	s_and_saveexec_b32 s7, s5
; %bb.18:                               ;   in Loop: Header=BB2_4 Depth=1
	v_cmp_eq_f64_e64 s5, v[13:14], v[19:20]
	v_cmp_lt_i64_e32 vcc_lo, v[6:7], v[11:12]
	v_dual_mov_b32 v19, v9 :: v_dual_mov_b32 v20, v10
	v_dual_mov_b32 v22, v14 :: v_dual_cndmask_b32 v7, v12, v7
	s_delay_alu instid0(VALU_DEP_4) | instskip(SKIP_1) | instid1(VALU_DEP_2)
	s_and_b32 vcc_lo, s5, vcc_lo
	v_dual_mov_b32 v21, v13 :: v_dual_cndmask_b32 v6, v11, v6
	v_cndmask_b32_e64 v7, v12, v7, s5
; %bb.19:                               ;   in Loop: Header=BB2_4 Depth=1
	s_or_b32 exec_lo, exec_lo, s7
	v_dual_mov_b32 v10, v20 :: v_dual_mov_b32 v9, v19
	s_delay_alu instid0(VALU_DEP_2)
	v_dual_mov_b32 v12, v7 :: v_dual_mov_b32 v11, v6
	v_dual_mov_b32 v13, v21 :: v_dual_mov_b32 v14, v22
.LBB2_20:                               ;   in Loop: Header=BB2_4 Depth=1
	s_or_b32 exec_lo, exec_lo, s6
	ds_bpermute_b32 v6, v28, v11
	ds_bpermute_b32 v7, v28, v12
	s_waitcnt lgkmcnt(3)
	ds_bpermute_b32 v19, v28, v9
	s_waitcnt lgkmcnt(3)
	ds_bpermute_b32 v20, v28, v10
	s_mov_b32 s6, exec_lo
	s_waitcnt lgkmcnt(2)
	v_cmpx_ne_u64_e32 0, v[6:7]
	s_cbranch_execz .LBB2_24
; %bb.21:                               ;   in Loop: Header=BB2_4 Depth=1
	s_waitcnt lgkmcnt(0)
	v_cmp_nlt_f64_e32 vcc_lo, v[13:14], v[19:20]
	v_cmp_ne_u64_e64 s5, 0, v[11:12]
	v_dual_mov_b32 v22, v20 :: v_dual_mov_b32 v21, v19
	s_delay_alu instid0(VALU_DEP_2) | instskip(NEXT) | instid1(SALU_CYCLE_1)
	s_and_b32 s5, s5, vcc_lo
	s_and_saveexec_b32 s7, s5
; %bb.22:                               ;   in Loop: Header=BB2_4 Depth=1
	v_cmp_eq_f64_e64 s5, v[13:14], v[19:20]
	v_cmp_lt_i64_e32 vcc_lo, v[6:7], v[11:12]
	v_dual_mov_b32 v19, v9 :: v_dual_mov_b32 v20, v10
	v_dual_mov_b32 v22, v14 :: v_dual_cndmask_b32 v7, v12, v7
	s_delay_alu instid0(VALU_DEP_4) | instskip(SKIP_1) | instid1(VALU_DEP_2)
	s_and_b32 vcc_lo, s5, vcc_lo
	v_dual_mov_b32 v21, v13 :: v_dual_cndmask_b32 v6, v11, v6
	v_cndmask_b32_e64 v7, v12, v7, s5
; %bb.23:                               ;   in Loop: Header=BB2_4 Depth=1
	s_or_b32 exec_lo, exec_lo, s7
	v_dual_mov_b32 v10, v20 :: v_dual_mov_b32 v9, v19
	s_delay_alu instid0(VALU_DEP_2)
	v_dual_mov_b32 v12, v7 :: v_dual_mov_b32 v11, v6
	v_dual_mov_b32 v13, v21 :: v_dual_mov_b32 v14, v22
.LBB2_24:                               ;   in Loop: Header=BB2_4 Depth=1
	s_or_b32 exec_lo, exec_lo, s6
	s_waitcnt lgkmcnt(1)
	ds_bpermute_b32 v19, v29, v11
	s_waitcnt lgkmcnt(1)
	ds_bpermute_b32 v20, v29, v12
	ds_bpermute_b32 v6, v29, v9
	;; [unrolled: 1-line block ×3, first 2 shown]
	s_mov_b32 s19, exec_lo
	s_waitcnt lgkmcnt(2)
	v_cmpx_ne_u64_e32 0, v[19:20]
	s_cbranch_execz .LBB2_26
; %bb.25:                               ;   in Loop: Header=BB2_4 Depth=1
	s_waitcnt lgkmcnt(0)
	v_cmp_eq_f64_e32 vcc_lo, v[13:14], v[6:7]
	v_cmp_lt_f64_e64 s5, v[13:14], v[6:7]
	v_cmp_lt_i64_e64 s6, v[19:20], v[11:12]
	v_cmp_eq_u64_e64 s7, 0, v[11:12]
	s_delay_alu instid0(VALU_DEP_2) | instskip(NEXT) | instid1(VALU_DEP_1)
	s_and_b32 vcc_lo, vcc_lo, s6
	s_or_b32 s5, s7, s5
	v_cndmask_b32_e32 v8, v12, v20, vcc_lo
	s_or_b32 vcc_lo, s5, vcc_lo
	v_cndmask_b32_e64 v14, v14, v7, s5
	v_cndmask_b32_e32 v11, v11, v19, vcc_lo
	v_cndmask_b32_e64 v13, v13, v6, s5
	v_cndmask_b32_e64 v12, v8, v20, s5
.LBB2_26:                               ;   in Loop: Header=BB2_4 Depth=1
	s_or_b32 exec_lo, exec_lo, s19
	s_and_saveexec_b32 s5, s4
	s_cbranch_execz .LBB2_28
; %bb.27:                               ;   in Loop: Header=BB2_4 Depth=1
	ds_store_b128 v30, v[11:14]
.LBB2_28:                               ;   in Loop: Header=BB2_4 Depth=1
	s_or_b32 exec_lo, exec_lo, s5
	s_waitcnt lgkmcnt(0)
	v_mov_b32_e32 v7, 0
	v_dual_mov_b32 v8, 0 :: v_dual_mov_b32 v9, 0
	v_mov_b32_e32 v10, 0
	s_barrier
	buffer_gl0_inv
	s_and_saveexec_b32 s5, s3
	s_cbranch_execz .LBB2_30
; %bb.29:                               ;   in Loop: Header=BB2_4 Depth=1
	ds_load_b128 v[7:10], v24
.LBB2_30:                               ;   in Loop: Header=BB2_4 Depth=1
	s_or_b32 exec_lo, exec_lo, s5
	s_and_saveexec_b32 s19, s3
	s_cbranch_execz .LBB2_50
; %bb.31:                               ;   in Loop: Header=BB2_4 Depth=1
	s_waitcnt lgkmcnt(0)
	ds_bpermute_b32 v13, v25, v7
	ds_bpermute_b32 v14, v25, v8
	;; [unrolled: 1-line block ×4, first 2 shown]
	v_dual_mov_b32 v12, v10 :: v_dual_mov_b32 v11, v9
	s_mov_b32 s6, exec_lo
	s_waitcnt lgkmcnt(2)
	v_cmpx_ne_u64_e32 0, v[13:14]
	s_cbranch_execz .LBB2_35
; %bb.32:                               ;   in Loop: Header=BB2_4 Depth=1
	s_waitcnt lgkmcnt(0)
	v_cmp_nlt_f64_e32 vcc_lo, v[9:10], v[19:20]
	v_cmp_ne_u64_e64 s5, 0, v[7:8]
	v_dual_mov_b32 v11, v19 :: v_dual_mov_b32 v12, v20
	s_delay_alu instid0(VALU_DEP_2) | instskip(NEXT) | instid1(SALU_CYCLE_1)
	s_and_b32 s5, s5, vcc_lo
	s_and_saveexec_b32 s7, s5
; %bb.33:                               ;   in Loop: Header=BB2_4 Depth=1
	v_cmp_eq_f64_e64 s5, v[9:10], v[19:20]
	v_cmp_lt_i64_e32 vcc_lo, v[13:14], v[7:8]
	v_dual_mov_b32 v12, v10 :: v_dual_mov_b32 v19, v9
	v_dual_mov_b32 v11, v9 :: v_dual_mov_b32 v20, v10
	v_cndmask_b32_e32 v6, v8, v14, vcc_lo
	s_and_b32 vcc_lo, s5, vcc_lo
	s_delay_alu instid0(VALU_DEP_1)
	v_cndmask_b32_e64 v14, v8, v6, s5
	v_cndmask_b32_e32 v13, v7, v13, vcc_lo
; %bb.34:                               ;   in Loop: Header=BB2_4 Depth=1
	s_or_b32 exec_lo, exec_lo, s7
	v_dual_mov_b32 v10, v20 :: v_dual_mov_b32 v9, v19
	s_delay_alu instid0(VALU_DEP_2)
	v_dual_mov_b32 v7, v13 :: v_dual_mov_b32 v8, v14
.LBB2_35:                               ;   in Loop: Header=BB2_4 Depth=1
	s_or_b32 exec_lo, exec_lo, s6
	ds_bpermute_b32 v13, v26, v7
	ds_bpermute_b32 v14, v26, v8
	s_waitcnt lgkmcnt(3)
	ds_bpermute_b32 v19, v26, v9
	s_waitcnt lgkmcnt(3)
	ds_bpermute_b32 v20, v26, v10
	s_mov_b32 s6, exec_lo
	s_waitcnt lgkmcnt(2)
	v_cmpx_ne_u64_e32 0, v[13:14]
	s_cbranch_execz .LBB2_39
; %bb.36:                               ;   in Loop: Header=BB2_4 Depth=1
	s_waitcnt lgkmcnt(0)
	v_cmp_nlt_f64_e32 vcc_lo, v[11:12], v[19:20]
	v_cmp_ne_u64_e64 s5, 0, v[7:8]
	v_dual_mov_b32 v22, v20 :: v_dual_mov_b32 v21, v19
	s_delay_alu instid0(VALU_DEP_2) | instskip(NEXT) | instid1(SALU_CYCLE_1)
	s_and_b32 s5, s5, vcc_lo
	s_and_saveexec_b32 s7, s5
; %bb.37:                               ;   in Loop: Header=BB2_4 Depth=1
	v_cmp_eq_f64_e64 s5, v[11:12], v[19:20]
	v_cmp_lt_i64_e32 vcc_lo, v[13:14], v[7:8]
	v_dual_mov_b32 v22, v12 :: v_dual_mov_b32 v19, v9
	v_dual_mov_b32 v21, v11 :: v_dual_mov_b32 v20, v10
	v_cndmask_b32_e32 v6, v8, v14, vcc_lo
	s_and_b32 vcc_lo, s5, vcc_lo
	s_delay_alu instid0(VALU_DEP_1)
	v_cndmask_b32_e64 v14, v8, v6, s5
	v_cndmask_b32_e32 v13, v7, v13, vcc_lo
; %bb.38:                               ;   in Loop: Header=BB2_4 Depth=1
	s_or_b32 exec_lo, exec_lo, s7
	v_dual_mov_b32 v10, v20 :: v_dual_mov_b32 v9, v19
	s_delay_alu instid0(VALU_DEP_2)
	v_dual_mov_b32 v7, v13 :: v_dual_mov_b32 v8, v14
	v_dual_mov_b32 v11, v21 :: v_dual_mov_b32 v12, v22
.LBB2_39:                               ;   in Loop: Header=BB2_4 Depth=1
	s_or_b32 exec_lo, exec_lo, s6
	ds_bpermute_b32 v13, v27, v7
	ds_bpermute_b32 v14, v27, v8
	s_waitcnt lgkmcnt(3)
	ds_bpermute_b32 v19, v27, v9
	s_waitcnt lgkmcnt(3)
	ds_bpermute_b32 v20, v27, v10
	s_mov_b32 s6, exec_lo
	s_waitcnt lgkmcnt(2)
	v_cmpx_ne_u64_e32 0, v[13:14]
	s_cbranch_execz .LBB2_43
; %bb.40:                               ;   in Loop: Header=BB2_4 Depth=1
	s_waitcnt lgkmcnt(0)
	v_cmp_nlt_f64_e32 vcc_lo, v[11:12], v[19:20]
	v_cmp_ne_u64_e64 s5, 0, v[7:8]
	v_dual_mov_b32 v22, v20 :: v_dual_mov_b32 v21, v19
	s_delay_alu instid0(VALU_DEP_2) | instskip(NEXT) | instid1(SALU_CYCLE_1)
	s_and_b32 s5, s5, vcc_lo
	s_and_saveexec_b32 s7, s5
; %bb.41:                               ;   in Loop: Header=BB2_4 Depth=1
	v_cmp_eq_f64_e64 s5, v[11:12], v[19:20]
	v_cmp_lt_i64_e32 vcc_lo, v[13:14], v[7:8]
	v_dual_mov_b32 v22, v12 :: v_dual_mov_b32 v19, v9
	v_dual_mov_b32 v21, v11 :: v_dual_mov_b32 v20, v10
	v_cndmask_b32_e32 v6, v8, v14, vcc_lo
	s_and_b32 vcc_lo, s5, vcc_lo
	s_delay_alu instid0(VALU_DEP_1)
	v_cndmask_b32_e64 v14, v8, v6, s5
	v_cndmask_b32_e32 v13, v7, v13, vcc_lo
; %bb.42:                               ;   in Loop: Header=BB2_4 Depth=1
	s_or_b32 exec_lo, exec_lo, s7
	v_dual_mov_b32 v10, v20 :: v_dual_mov_b32 v9, v19
	s_delay_alu instid0(VALU_DEP_2)
	v_dual_mov_b32 v7, v13 :: v_dual_mov_b32 v8, v14
	v_dual_mov_b32 v11, v21 :: v_dual_mov_b32 v12, v22
.LBB2_43:                               ;   in Loop: Header=BB2_4 Depth=1
	;; [unrolled: 36-line block ×3, first 2 shown]
	s_or_b32 exec_lo, exec_lo, s6
	ds_bpermute_b32 v13, v29, v7
	ds_bpermute_b32 v14, v29, v8
	;; [unrolled: 1-line block ×4, first 2 shown]
	s_mov_b32 s20, exec_lo
	s_waitcnt lgkmcnt(2)
	v_cmpx_ne_u64_e32 0, v[13:14]
	s_cbranch_execz .LBB2_49
; %bb.48:                               ;   in Loop: Header=BB2_4 Depth=1
	s_waitcnt lgkmcnt(0)
	v_cmp_eq_f64_e32 vcc_lo, v[11:12], v[9:10]
	v_cmp_lt_f64_e64 s5, v[11:12], v[9:10]
	v_cmp_lt_i64_e64 s6, v[13:14], v[7:8]
	v_cmp_eq_u64_e64 s7, 0, v[7:8]
	s_delay_alu instid0(VALU_DEP_2) | instskip(NEXT) | instid1(VALU_DEP_1)
	s_and_b32 vcc_lo, vcc_lo, s6
	s_or_b32 s5, s7, s5
	v_cndmask_b32_e32 v6, v8, v14, vcc_lo
	s_or_b32 vcc_lo, s5, vcc_lo
	v_cndmask_b32_e64 v12, v12, v10, s5
	v_cndmask_b32_e32 v7, v7, v13, vcc_lo
	v_cndmask_b32_e64 v11, v11, v9, s5
	v_cndmask_b32_e64 v8, v6, v14, s5
.LBB2_49:                               ;   in Loop: Header=BB2_4 Depth=1
	s_or_b32 exec_lo, exec_lo, s20
	s_waitcnt lgkmcnt(0)
	s_delay_alu instid0(VALU_DEP_2)
	v_dual_mov_b32 v9, v11 :: v_dual_mov_b32 v10, v12
.LBB2_50:                               ;   in Loop: Header=BB2_4 Depth=1
	s_or_b32 exec_lo, exec_lo, s19
	s_waitcnt lgkmcnt(0)
	v_cmp_ne_u64_e32 vcc_lo, 0, v[7:8]
	s_and_b32 s5, s18, vcc_lo
	s_delay_alu instid0(SALU_CYCLE_1)
	s_and_saveexec_b32 s6, s5
	s_cbranch_execz .LBB2_3
; %bb.51:                               ;   in Loop: Header=BB2_4 Depth=1
	v_cmp_ngt_f64_e32 vcc_lo, v[9:10], v[3:4]
	v_cmp_ne_u64_e64 s5, 0, v[1:2]
	v_dual_mov_b32 v12, v10 :: v_dual_mov_b32 v11, v9
	s_delay_alu instid0(VALU_DEP_2) | instskip(NEXT) | instid1(SALU_CYCLE_1)
	s_and_b32 s5, s5, vcc_lo
	s_and_saveexec_b32 s7, s5
	s_cbranch_execz .LBB2_2
; %bb.52:                               ;   in Loop: Header=BB2_4 Depth=1
	v_cmp_eq_f64_e64 s5, v[3:4], v[9:10]
	v_cmp_lt_i64_e32 vcc_lo, v[7:8], v[1:2]
	v_dual_mov_b32 v12, v4 :: v_dual_mov_b32 v11, v3
	v_cndmask_b32_e32 v6, v2, v8, vcc_lo
	s_delay_alu instid0(VALU_DEP_4) | instskip(SKIP_1) | instid1(VALU_DEP_2)
	s_and_b32 vcc_lo, s5, vcc_lo
	v_cndmask_b32_e32 v7, v1, v7, vcc_lo
	v_cndmask_b32_e64 v8, v2, v6, s5
	s_branch .LBB2_2
.LBB2_53:
	v_mov_b32_e32 v1, 0
	v_mov_b32_e32 v2, 0
.LBB2_54:
	s_mov_b32 s15, 0
	s_mov_b32 s3, exec_lo
	v_cmpx_eq_u32_e32 0, v0
	s_cbranch_execz .LBB2_56
; %bb.55:
	s_load_b32 s0, s[0:1], 0x30
	v_mov_b32_e32 v0, 0
	s_waitcnt lgkmcnt(0)
	s_mul_hi_u32 s1, s0, s2
	s_mul_i32 s0, s0, s2
	s_delay_alu instid0(SALU_CYCLE_1) | instskip(NEXT) | instid1(SALU_CYCLE_1)
	s_lshl_b64 s[0:1], s[0:1], 4
	s_add_u32 s2, s10, s0
	s_addc_u32 s3, s11, s1
	s_lshl_b64 s[0:1], s[14:15], 4
	s_delay_alu instid0(SALU_CYCLE_1)
	s_add_u32 s0, s2, s0
	s_addc_u32 s1, s3, s1
	global_store_b128 v0, v[1:4], s[0:1]
.LBB2_56:
	s_nop 0
	s_sendmsg sendmsg(MSG_DEALLOC_VGPRS)
	s_endpgm
	.section	.rodata,"a",@progbits
	.p2align	6, 0x0
	.amdhsa_kernel _ZL35rocblas_iamax_iamin_kernel_part1_64ILi1024E26rocblas_fetch_amax_amin_64IdE22rocblas_reduce_amax_64PKd24rocblas_index_64_value_tIdEEvlT2_lllPT3_
		.amdhsa_group_segment_fixed_size 512
		.amdhsa_private_segment_fixed_size 0
		.amdhsa_kernarg_size 304
		.amdhsa_user_sgpr_count 14
		.amdhsa_user_sgpr_dispatch_ptr 0
		.amdhsa_user_sgpr_queue_ptr 0
		.amdhsa_user_sgpr_kernarg_segment_ptr 1
		.amdhsa_user_sgpr_dispatch_id 0
		.amdhsa_user_sgpr_private_segment_size 0
		.amdhsa_wavefront_size32 1
		.amdhsa_uses_dynamic_stack 0
		.amdhsa_enable_private_segment 0
		.amdhsa_system_sgpr_workgroup_id_x 1
		.amdhsa_system_sgpr_workgroup_id_y 0
		.amdhsa_system_sgpr_workgroup_id_z 1
		.amdhsa_system_sgpr_workgroup_info 0
		.amdhsa_system_vgpr_workitem_id 0
		.amdhsa_next_free_vgpr 31
		.amdhsa_next_free_sgpr 24
		.amdhsa_reserve_vcc 1
		.amdhsa_float_round_mode_32 0
		.amdhsa_float_round_mode_16_64 0
		.amdhsa_float_denorm_mode_32 3
		.amdhsa_float_denorm_mode_16_64 3
		.amdhsa_dx10_clamp 1
		.amdhsa_ieee_mode 1
		.amdhsa_fp16_overflow 0
		.amdhsa_workgroup_processor_mode 1
		.amdhsa_memory_ordered 1
		.amdhsa_forward_progress 0
		.amdhsa_shared_vgpr_count 0
		.amdhsa_exception_fp_ieee_invalid_op 0
		.amdhsa_exception_fp_denorm_src 0
		.amdhsa_exception_fp_ieee_div_zero 0
		.amdhsa_exception_fp_ieee_overflow 0
		.amdhsa_exception_fp_ieee_underflow 0
		.amdhsa_exception_fp_ieee_inexact 0
		.amdhsa_exception_int_div_zero 0
	.end_amdhsa_kernel
	.section	.text._ZL35rocblas_iamax_iamin_kernel_part1_64ILi1024E26rocblas_fetch_amax_amin_64IdE22rocblas_reduce_amax_64PKd24rocblas_index_64_value_tIdEEvlT2_lllPT3_,"axG",@progbits,_ZL35rocblas_iamax_iamin_kernel_part1_64ILi1024E26rocblas_fetch_amax_amin_64IdE22rocblas_reduce_amax_64PKd24rocblas_index_64_value_tIdEEvlT2_lllPT3_,comdat
.Lfunc_end2:
	.size	_ZL35rocblas_iamax_iamin_kernel_part1_64ILi1024E26rocblas_fetch_amax_amin_64IdE22rocblas_reduce_amax_64PKd24rocblas_index_64_value_tIdEEvlT2_lllPT3_, .Lfunc_end2-_ZL35rocblas_iamax_iamin_kernel_part1_64ILi1024E26rocblas_fetch_amax_amin_64IdE22rocblas_reduce_amax_64PKd24rocblas_index_64_value_tIdEEvlT2_lllPT3_
                                        ; -- End function
	.section	.AMDGPU.csdata,"",@progbits
; Kernel info:
; codeLenInByte = 2596
; NumSgprs: 26
; NumVgprs: 31
; ScratchSize: 0
; MemoryBound: 0
; FloatMode: 240
; IeeeMode: 1
; LDSByteSize: 512 bytes/workgroup (compile time only)
; SGPRBlocks: 3
; VGPRBlocks: 3
; NumSGPRsForWavesPerEU: 26
; NumVGPRsForWavesPerEU: 31
; Occupancy: 16
; WaveLimiterHint : 0
; COMPUTE_PGM_RSRC2:SCRATCH_EN: 0
; COMPUTE_PGM_RSRC2:USER_SGPR: 14
; COMPUTE_PGM_RSRC2:TRAP_HANDLER: 0
; COMPUTE_PGM_RSRC2:TGID_X_EN: 1
; COMPUTE_PGM_RSRC2:TGID_Y_EN: 0
; COMPUTE_PGM_RSRC2:TGID_Z_EN: 1
; COMPUTE_PGM_RSRC2:TIDIG_COMP_CNT: 0
	.section	.text._ZL35rocblas_iamax_iamin_kernel_part2_64ILi1024E22rocblas_reduce_amax_6424rocblas_index_64_value_tIdElEviPT1_PT2_,"axG",@progbits,_ZL35rocblas_iamax_iamin_kernel_part2_64ILi1024E22rocblas_reduce_amax_6424rocblas_index_64_value_tIdElEviPT1_PT2_,comdat
	.globl	_ZL35rocblas_iamax_iamin_kernel_part2_64ILi1024E22rocblas_reduce_amax_6424rocblas_index_64_value_tIdElEviPT1_PT2_ ; -- Begin function _ZL35rocblas_iamax_iamin_kernel_part2_64ILi1024E22rocblas_reduce_amax_6424rocblas_index_64_value_tIdElEviPT1_PT2_
	.p2align	8
	.type	_ZL35rocblas_iamax_iamin_kernel_part2_64ILi1024E22rocblas_reduce_amax_6424rocblas_index_64_value_tIdElEviPT1_PT2_,@function
_ZL35rocblas_iamax_iamin_kernel_part2_64ILi1024E22rocblas_reduce_amax_6424rocblas_index_64_value_tIdElEviPT1_PT2_: ; @_ZL35rocblas_iamax_iamin_kernel_part2_64ILi1024E22rocblas_reduce_amax_6424rocblas_index_64_value_tIdElEviPT1_PT2_
; %bb.0:
	s_clause 0x1
	s_load_b32 s3, s[0:1], 0x0
	s_load_b128 s[4:7], s[0:1], 0x8
	v_mov_b32_e32 v1, 0
	v_mov_b32_e32 v2, 0
	s_mov_b32 s8, s15
	s_mov_b32 s2, exec_lo
	s_waitcnt lgkmcnt(0)
	v_cmpx_gt_i32_e64 s3, v0
	s_cbranch_execz .LBB3_10
; %bb.1:
	s_mul_hi_u32 s1, s3, s8
	s_mul_i32 s0, s3, s8
	v_lshlrev_b32_e32 v5, 4, v0
	s_lshl_b64 s[0:1], s[0:1], 4
	v_or_b32_e32 v11, 0x400, v0
	s_add_u32 s10, s4, s0
	s_addc_u32 s11, s5, s1
	s_mov_b32 s9, exec_lo
	global_load_b128 v[1:4], v5, s[10:11]
	v_cmpx_gt_u32_e64 s3, v11
	s_cbranch_execz .LBB3_9
; %bb.2:
	s_add_u32 s0, s4, s0
	s_addc_u32 s1, s5, s1
	v_add_co_u32 v5, s0, s0, v5
	s_delay_alu instid0(VALU_DEP_1) | instskip(SKIP_1) | instid1(VALU_DEP_2)
	v_add_co_ci_u32_e64 v6, null, s1, 0, s0
	s_mov_b32 s1, 0
	v_add_co_u32 v5, vcc_lo, 0x4008, v5
	s_delay_alu instid0(VALU_DEP_2)
	v_add_co_ci_u32_e32 v6, vcc_lo, 0, v6, vcc_lo
	s_set_inst_prefetch_distance 0x1
	s_branch .LBB3_5
	.p2align	6
.LBB3_3:                                ;   in Loop: Header=BB3_5 Depth=1
	s_or_b32 exec_lo, exec_lo, s5
	s_delay_alu instid0(VALU_DEP_1)
	v_dual_mov_b32 v1, v7 :: v_dual_mov_b32 v2, v8
	v_dual_mov_b32 v3, v9 :: v_dual_mov_b32 v4, v10
.LBB3_4:                                ;   in Loop: Header=BB3_5 Depth=1
	s_or_b32 exec_lo, exec_lo, s4
	v_add_nc_u32_e32 v11, 0x400, v11
	v_add_co_u32 v5, s0, 0x4000, v5
	s_delay_alu instid0(VALU_DEP_1) | instskip(NEXT) | instid1(VALU_DEP_3)
	v_add_co_ci_u32_e64 v6, s0, 0, v6, s0
	v_cmp_le_i32_e32 vcc_lo, s3, v11
	s_or_b32 s1, vcc_lo, s1
	s_delay_alu instid0(SALU_CYCLE_1)
	s_and_not1_b32 exec_lo, exec_lo, s1
	s_cbranch_execz .LBB3_8
.LBB3_5:                                ; =>This Inner Loop Header: Depth=1
	global_load_b64 v[7:8], v[5:6], off offset:-8
	s_mov_b32 s4, exec_lo
	s_waitcnt vmcnt(0)
	v_cmpx_ne_u64_e32 0, v[7:8]
	s_cbranch_execz .LBB3_4
; %bb.6:                                ;   in Loop: Header=BB3_5 Depth=1
	global_load_b64 v[9:10], v[5:6], off
	v_cmp_ne_u64_e64 s0, 0, v[1:2]
	s_waitcnt vmcnt(0)
	v_cmp_ngt_f64_e32 vcc_lo, v[9:10], v[3:4]
	s_delay_alu instid0(VALU_DEP_2) | instskip(NEXT) | instid1(SALU_CYCLE_1)
	s_and_b32 s0, s0, vcc_lo
	s_and_saveexec_b32 s5, s0
	s_cbranch_execz .LBB3_3
; %bb.7:                                ;   in Loop: Header=BB3_5 Depth=1
	v_cmp_eq_f64_e64 s0, v[3:4], v[9:10]
	v_cmp_lt_i64_e32 vcc_lo, v[7:8], v[1:2]
	v_dual_mov_b32 v10, v4 :: v_dual_mov_b32 v9, v3
	v_cndmask_b32_e32 v8, v2, v8, vcc_lo
	s_delay_alu instid0(VALU_DEP_4) | instskip(SKIP_1) | instid1(VALU_DEP_2)
	s_and_b32 vcc_lo, s0, vcc_lo
	v_cndmask_b32_e32 v7, v1, v7, vcc_lo
	v_cndmask_b32_e64 v8, v2, v8, s0
	s_branch .LBB3_3
.LBB3_8:
	s_set_inst_prefetch_distance 0x2
	s_or_b32 exec_lo, exec_lo, s1
.LBB3_9:
	s_delay_alu instid0(SALU_CYCLE_1)
	s_or_b32 exec_lo, exec_lo, s9
.LBB3_10:
	s_delay_alu instid0(SALU_CYCLE_1) | instskip(SKIP_2) | instid1(VALU_DEP_2)
	s_or_b32 exec_lo, exec_lo, s2
	v_and_b32_e32 v19, 31, v0
	v_cmp_gt_u32_e32 vcc_lo, 32, v0
	v_lshlrev_b32_e32 v15, 4, v19
	s_and_saveexec_b32 s0, vcc_lo
	s_cbranch_execz .LBB3_12
; %bb.11:
	v_mov_b32_e32 v5, 0
	s_delay_alu instid0(VALU_DEP_1)
	v_mov_b32_e32 v6, v5
	v_mov_b32_e32 v7, v5
	;; [unrolled: 1-line block ×3, first 2 shown]
	ds_store_b128 v15, v[5:8]
.LBB3_12:
	s_or_b32 exec_lo, exec_lo, s0
	v_mbcnt_lo_u32_b32 v18, -1, 0
	s_mov_b32 s2, exec_lo
	s_waitcnt vmcnt(0) lgkmcnt(0)
	s_barrier
	buffer_gl0_inv
	v_cmp_gt_u32_e64 s0, 16, v18
	s_delay_alu instid0(VALU_DEP_1) | instskip(NEXT) | instid1(VALU_DEP_1)
	v_cndmask_b32_e64 v5, 0, 1, s0
	v_lshlrev_b32_e32 v5, 4, v5
	s_delay_alu instid0(VALU_DEP_1)
	v_add_lshl_u32 v13, v5, v18, 2
	v_dual_mov_b32 v6, v4 :: v_dual_mov_b32 v5, v3
	ds_bpermute_b32 v7, v13, v1
	ds_bpermute_b32 v8, v13, v2
	;; [unrolled: 1-line block ×4, first 2 shown]
	s_waitcnt lgkmcnt(2)
	v_cmpx_ne_u64_e32 0, v[7:8]
	s_cbranch_execz .LBB3_16
; %bb.13:
	s_waitcnt lgkmcnt(0)
	v_cmp_nlt_f64_e64 s0, v[3:4], v[9:10]
	v_cmp_ne_u64_e64 s1, 0, v[1:2]
	v_dual_mov_b32 v5, v9 :: v_dual_mov_b32 v6, v10
	s_delay_alu instid0(VALU_DEP_2) | instskip(NEXT) | instid1(SALU_CYCLE_1)
	s_and_b32 s0, s1, s0
	s_and_saveexec_b32 s3, s0
; %bb.14:
	v_cmp_eq_f64_e64 s1, v[3:4], v[9:10]
	v_cmp_lt_i64_e64 s0, v[7:8], v[1:2]
	v_dual_mov_b32 v6, v4 :: v_dual_mov_b32 v5, v3
	v_dual_mov_b32 v9, v3 :: v_dual_mov_b32 v10, v4
	s_delay_alu instid0(VALU_DEP_3) | instskip(SKIP_1) | instid1(VALU_DEP_1)
	v_cndmask_b32_e64 v8, v2, v8, s0
	s_and_b32 s0, s1, s0
	v_cndmask_b32_e64 v8, v2, v8, s1
	v_cndmask_b32_e64 v7, v1, v7, s0
; %bb.15:
	s_or_b32 exec_lo, exec_lo, s3
	v_dual_mov_b32 v4, v10 :: v_dual_mov_b32 v3, v9
	s_delay_alu instid0(VALU_DEP_2)
	v_dual_mov_b32 v1, v7 :: v_dual_mov_b32 v2, v8
.LBB3_16:
	s_or_b32 exec_lo, exec_lo, s2
	v_cmp_gt_u32_e64 s0, 24, v18
	s_mov_b32 s2, exec_lo
	s_delay_alu instid0(VALU_DEP_1) | instskip(NEXT) | instid1(VALU_DEP_1)
	v_cndmask_b32_e64 v7, 0, 1, s0
	v_lshlrev_b32_e32 v7, 3, v7
	s_delay_alu instid0(VALU_DEP_1)
	v_add_lshl_u32 v14, v7, v18, 2
	ds_bpermute_b32 v7, v14, v1
	ds_bpermute_b32 v8, v14, v2
	s_waitcnt lgkmcnt(3)
	ds_bpermute_b32 v9, v14, v3
	s_waitcnt lgkmcnt(3)
	ds_bpermute_b32 v10, v14, v4
	s_waitcnt lgkmcnt(2)
	v_cmpx_ne_u64_e32 0, v[7:8]
	s_cbranch_execz .LBB3_20
; %bb.17:
	s_waitcnt lgkmcnt(0)
	v_cmp_nlt_f64_e64 s0, v[5:6], v[9:10]
	v_cmp_ne_u64_e64 s1, 0, v[1:2]
	v_dual_mov_b32 v12, v10 :: v_dual_mov_b32 v11, v9
	s_delay_alu instid0(VALU_DEP_2) | instskip(NEXT) | instid1(SALU_CYCLE_1)
	s_and_b32 s0, s1, s0
	s_and_saveexec_b32 s3, s0
; %bb.18:
	v_cmp_eq_f64_e64 s1, v[5:6], v[9:10]
	v_cmp_lt_i64_e64 s0, v[7:8], v[1:2]
	v_dual_mov_b32 v12, v6 :: v_dual_mov_b32 v11, v5
	v_dual_mov_b32 v9, v3 :: v_dual_mov_b32 v10, v4
	s_delay_alu instid0(VALU_DEP_3) | instskip(SKIP_1) | instid1(VALU_DEP_1)
	v_cndmask_b32_e64 v8, v2, v8, s0
	s_and_b32 s0, s1, s0
	v_cndmask_b32_e64 v8, v2, v8, s1
	v_cndmask_b32_e64 v7, v1, v7, s0
; %bb.19:
	s_or_b32 exec_lo, exec_lo, s3
	v_dual_mov_b32 v4, v10 :: v_dual_mov_b32 v3, v9
	s_delay_alu instid0(VALU_DEP_2)
	v_dual_mov_b32 v1, v7 :: v_dual_mov_b32 v2, v8
	v_dual_mov_b32 v5, v11 :: v_dual_mov_b32 v6, v12
.LBB3_20:
	s_or_b32 exec_lo, exec_lo, s2
	v_cmp_gt_u32_e64 s0, 28, v18
	s_mov_b32 s2, exec_lo
	s_delay_alu instid0(VALU_DEP_1) | instskip(NEXT) | instid1(VALU_DEP_1)
	v_cndmask_b32_e64 v7, 0, 1, s0
	v_lshlrev_b32_e32 v7, 2, v7
	s_delay_alu instid0(VALU_DEP_1)
	v_add_lshl_u32 v16, v7, v18, 2
	ds_bpermute_b32 v7, v16, v1
	ds_bpermute_b32 v8, v16, v2
	s_waitcnt lgkmcnt(3)
	ds_bpermute_b32 v9, v16, v3
	s_waitcnt lgkmcnt(3)
	ds_bpermute_b32 v10, v16, v4
	s_waitcnt lgkmcnt(2)
	v_cmpx_ne_u64_e32 0, v[7:8]
	s_cbranch_execz .LBB3_24
; %bb.21:
	s_waitcnt lgkmcnt(0)
	v_cmp_nlt_f64_e64 s0, v[5:6], v[9:10]
	v_cmp_ne_u64_e64 s1, 0, v[1:2]
	v_dual_mov_b32 v12, v10 :: v_dual_mov_b32 v11, v9
	s_delay_alu instid0(VALU_DEP_2) | instskip(NEXT) | instid1(SALU_CYCLE_1)
	s_and_b32 s0, s1, s0
	s_and_saveexec_b32 s3, s0
; %bb.22:
	v_cmp_eq_f64_e64 s1, v[5:6], v[9:10]
	v_cmp_lt_i64_e64 s0, v[7:8], v[1:2]
	v_dual_mov_b32 v12, v6 :: v_dual_mov_b32 v11, v5
	v_dual_mov_b32 v9, v3 :: v_dual_mov_b32 v10, v4
	s_delay_alu instid0(VALU_DEP_3) | instskip(SKIP_1) | instid1(VALU_DEP_1)
	v_cndmask_b32_e64 v8, v2, v8, s0
	s_and_b32 s0, s1, s0
	v_cndmask_b32_e64 v8, v2, v8, s1
	v_cndmask_b32_e64 v7, v1, v7, s0
; %bb.23:
	s_or_b32 exec_lo, exec_lo, s3
	v_dual_mov_b32 v4, v10 :: v_dual_mov_b32 v3, v9
	s_delay_alu instid0(VALU_DEP_2)
	v_dual_mov_b32 v1, v7 :: v_dual_mov_b32 v2, v8
	v_dual_mov_b32 v5, v11 :: v_dual_mov_b32 v6, v12
.LBB3_24:
	;; [unrolled: 42-line block ×3, first 2 shown]
	s_or_b32 exec_lo, exec_lo, s2
	v_cmp_ne_u32_e64 s0, 31, v18
	s_mov_b32 s4, exec_lo
	s_delay_alu instid0(VALU_DEP_1) | instskip(NEXT) | instid1(VALU_DEP_1)
	v_add_co_ci_u32_e64 v7, s0, 0, v18, s0
	v_lshlrev_b32_e32 v18, 2, v7
	ds_bpermute_b32 v7, v18, v1
	ds_bpermute_b32 v8, v18, v2
	;; [unrolled: 1-line block ×4, first 2 shown]
	s_waitcnt lgkmcnt(2)
	v_cmpx_ne_u64_e32 0, v[7:8]
	s_cbranch_execz .LBB3_30
; %bb.29:
	s_waitcnt lgkmcnt(0)
	v_cmp_eq_f64_e64 s0, v[5:6], v[3:4]
	v_cmp_lt_f64_e64 s1, v[5:6], v[3:4]
	v_cmp_lt_i64_e64 s2, v[7:8], v[1:2]
	v_cmp_eq_u64_e64 s3, 0, v[1:2]
	s_delay_alu instid0(VALU_DEP_2) | instskip(NEXT) | instid1(VALU_DEP_1)
	s_and_b32 s0, s0, s2
	s_or_b32 s1, s3, s1
	v_cndmask_b32_e64 v2, v2, v8, s0
	s_or_b32 s0, s1, s0
	v_cndmask_b32_e64 v6, v6, v4, s1
	v_cndmask_b32_e64 v1, v1, v7, s0
	;; [unrolled: 1-line block ×4, first 2 shown]
.LBB3_30:
	s_or_b32 exec_lo, exec_lo, s4
	s_delay_alu instid0(SALU_CYCLE_1)
	s_mov_b32 s1, exec_lo
	v_cmpx_eq_u32_e32 0, v19
	s_cbranch_execz .LBB3_32
; %bb.31:
	s_waitcnt lgkmcnt(0)
	v_lshrrev_b32_e32 v4, 1, v0
	v_mov_b32_e32 v3, v5
	s_delay_alu instid0(VALU_DEP_2)
	v_dual_mov_b32 v4, v6 :: v_dual_and_b32 v5, 0x1f0, v4
	ds_store_b128 v5, v[1:4]
.LBB3_32:
	s_or_b32 exec_lo, exec_lo, s1
	v_mov_b32_e32 v1, 0
	s_waitcnt lgkmcnt(0)
	v_dual_mov_b32 v2, 0 :: v_dual_mov_b32 v3, 0
	v_mov_b32_e32 v4, 0
	s_barrier
	buffer_gl0_inv
	s_and_saveexec_b32 s0, vcc_lo
	s_cbranch_execz .LBB3_34
; %bb.33:
	ds_load_b128 v[1:4], v15
.LBB3_34:
	s_or_b32 exec_lo, exec_lo, s0
	s_and_saveexec_b32 s3, vcc_lo
	s_cbranch_execz .LBB3_54
; %bb.35:
	s_waitcnt lgkmcnt(0)
	ds_bpermute_b32 v7, v13, v1
	ds_bpermute_b32 v8, v13, v2
	;; [unrolled: 1-line block ×4, first 2 shown]
	v_dual_mov_b32 v6, v4 :: v_dual_mov_b32 v5, v3
	s_mov_b32 s1, exec_lo
	s_waitcnt lgkmcnt(2)
	v_cmpx_ne_u64_e32 0, v[7:8]
	s_cbranch_execz .LBB3_39
; %bb.36:
	s_waitcnt lgkmcnt(0)
	v_cmp_nlt_f64_e32 vcc_lo, v[3:4], v[9:10]
	v_cmp_ne_u64_e64 s0, 0, v[1:2]
	v_dual_mov_b32 v5, v9 :: v_dual_mov_b32 v6, v10
	s_delay_alu instid0(VALU_DEP_2) | instskip(NEXT) | instid1(SALU_CYCLE_1)
	s_and_b32 s0, s0, vcc_lo
	s_and_saveexec_b32 s2, s0
; %bb.37:
	v_cmp_eq_f64_e64 s0, v[3:4], v[9:10]
	v_cmp_lt_i64_e32 vcc_lo, v[7:8], v[1:2]
	v_dual_mov_b32 v6, v4 :: v_dual_mov_b32 v9, v3
	v_dual_mov_b32 v5, v3 :: v_dual_mov_b32 v10, v4
	v_cndmask_b32_e32 v8, v2, v8, vcc_lo
	s_and_b32 vcc_lo, s0, vcc_lo
	s_delay_alu instid0(VALU_DEP_1)
	v_cndmask_b32_e64 v8, v2, v8, s0
	v_cndmask_b32_e32 v7, v1, v7, vcc_lo
; %bb.38:
	s_or_b32 exec_lo, exec_lo, s2
	v_dual_mov_b32 v4, v10 :: v_dual_mov_b32 v3, v9
	s_delay_alu instid0(VALU_DEP_2)
	v_dual_mov_b32 v1, v7 :: v_dual_mov_b32 v2, v8
.LBB3_39:
	s_or_b32 exec_lo, exec_lo, s1
	ds_bpermute_b32 v7, v14, v1
	ds_bpermute_b32 v8, v14, v2
	s_waitcnt lgkmcnt(3)
	ds_bpermute_b32 v9, v14, v3
	s_waitcnt lgkmcnt(3)
	ds_bpermute_b32 v10, v14, v4
	s_mov_b32 s1, exec_lo
	s_waitcnt lgkmcnt(2)
	v_cmpx_ne_u64_e32 0, v[7:8]
	s_cbranch_execz .LBB3_43
; %bb.40:
	s_waitcnt lgkmcnt(0)
	v_cmp_nlt_f64_e32 vcc_lo, v[5:6], v[9:10]
	v_cmp_ne_u64_e64 s0, 0, v[1:2]
	v_dual_mov_b32 v12, v10 :: v_dual_mov_b32 v11, v9
	s_delay_alu instid0(VALU_DEP_2) | instskip(NEXT) | instid1(SALU_CYCLE_1)
	s_and_b32 s0, s0, vcc_lo
	s_and_saveexec_b32 s2, s0
; %bb.41:
	v_cmp_eq_f64_e64 s0, v[5:6], v[9:10]
	v_cmp_lt_i64_e32 vcc_lo, v[7:8], v[1:2]
	v_dual_mov_b32 v12, v6 :: v_dual_mov_b32 v9, v3
	v_dual_mov_b32 v11, v5 :: v_dual_mov_b32 v10, v4
	v_cndmask_b32_e32 v8, v2, v8, vcc_lo
	s_and_b32 vcc_lo, s0, vcc_lo
	s_delay_alu instid0(VALU_DEP_1)
	v_cndmask_b32_e64 v8, v2, v8, s0
	v_cndmask_b32_e32 v7, v1, v7, vcc_lo
; %bb.42:
	s_or_b32 exec_lo, exec_lo, s2
	v_dual_mov_b32 v4, v10 :: v_dual_mov_b32 v3, v9
	s_delay_alu instid0(VALU_DEP_2)
	v_dual_mov_b32 v1, v7 :: v_dual_mov_b32 v2, v8
	v_dual_mov_b32 v5, v11 :: v_dual_mov_b32 v6, v12
.LBB3_43:
	s_or_b32 exec_lo, exec_lo, s1
	ds_bpermute_b32 v7, v16, v1
	ds_bpermute_b32 v8, v16, v2
	s_waitcnt lgkmcnt(3)
	ds_bpermute_b32 v9, v16, v3
	s_waitcnt lgkmcnt(3)
	ds_bpermute_b32 v10, v16, v4
	s_mov_b32 s1, exec_lo
	s_waitcnt lgkmcnt(2)
	v_cmpx_ne_u64_e32 0, v[7:8]
	s_cbranch_execz .LBB3_47
; %bb.44:
	s_waitcnt lgkmcnt(0)
	v_cmp_nlt_f64_e32 vcc_lo, v[5:6], v[9:10]
	v_cmp_ne_u64_e64 s0, 0, v[1:2]
	v_dual_mov_b32 v12, v10 :: v_dual_mov_b32 v11, v9
	s_delay_alu instid0(VALU_DEP_2) | instskip(NEXT) | instid1(SALU_CYCLE_1)
	s_and_b32 s0, s0, vcc_lo
	s_and_saveexec_b32 s2, s0
; %bb.45:
	v_cmp_eq_f64_e64 s0, v[5:6], v[9:10]
	v_cmp_lt_i64_e32 vcc_lo, v[7:8], v[1:2]
	v_dual_mov_b32 v12, v6 :: v_dual_mov_b32 v9, v3
	v_dual_mov_b32 v11, v5 :: v_dual_mov_b32 v10, v4
	v_cndmask_b32_e32 v8, v2, v8, vcc_lo
	s_and_b32 vcc_lo, s0, vcc_lo
	s_delay_alu instid0(VALU_DEP_1)
	v_cndmask_b32_e64 v8, v2, v8, s0
	v_cndmask_b32_e32 v7, v1, v7, vcc_lo
; %bb.46:
	s_or_b32 exec_lo, exec_lo, s2
	v_dual_mov_b32 v4, v10 :: v_dual_mov_b32 v3, v9
	s_delay_alu instid0(VALU_DEP_2)
	v_dual_mov_b32 v1, v7 :: v_dual_mov_b32 v2, v8
	v_dual_mov_b32 v5, v11 :: v_dual_mov_b32 v6, v12
.LBB3_47:
	;; [unrolled: 36-line block ×3, first 2 shown]
	s_or_b32 exec_lo, exec_lo, s1
	ds_bpermute_b32 v7, v18, v1
	ds_bpermute_b32 v8, v18, v2
	ds_bpermute_b32 v3, v18, v3
	ds_bpermute_b32 v4, v18, v4
	s_mov_b32 s4, exec_lo
	s_waitcnt lgkmcnt(2)
	v_cmpx_ne_u64_e32 0, v[7:8]
	s_cbranch_execz .LBB3_53
; %bb.52:
	s_waitcnt lgkmcnt(0)
	v_cmp_eq_f64_e32 vcc_lo, v[5:6], v[3:4]
	v_cmp_lt_f64_e64 s0, v[5:6], v[3:4]
	v_cmp_lt_i64_e64 s1, v[7:8], v[1:2]
	v_cmp_eq_u64_e64 s2, 0, v[1:2]
	s_delay_alu instid0(VALU_DEP_2) | instskip(NEXT) | instid1(VALU_DEP_1)
	s_and_b32 vcc_lo, vcc_lo, s1
	s_or_b32 s0, s2, s0
	v_cndmask_b32_e32 v2, v2, v8, vcc_lo
	s_or_b32 vcc_lo, s0, vcc_lo
	v_cndmask_b32_e32 v1, v1, v7, vcc_lo
	s_delay_alu instid0(VALU_DEP_2)
	v_cndmask_b32_e64 v2, v2, v8, s0
.LBB3_53:
	s_or_b32 exec_lo, exec_lo, s4
.LBB3_54:
	s_delay_alu instid0(SALU_CYCLE_1)
	s_or_b32 exec_lo, exec_lo, s3
	s_mov_b32 s9, 0
	s_mov_b32 s0, exec_lo
	v_cmpx_eq_u32_e32 0, v0
	s_cbranch_execz .LBB3_56
; %bb.55:
	s_lshl_b64 s[0:1], s[8:9], 3
	v_mov_b32_e32 v0, 0
	s_add_u32 s0, s6, s0
	s_addc_u32 s1, s7, s1
	s_waitcnt lgkmcnt(0)
	global_store_b64 v0, v[1:2], s[0:1]
.LBB3_56:
	s_nop 0
	s_sendmsg sendmsg(MSG_DEALLOC_VGPRS)
	s_endpgm
	.section	.rodata,"a",@progbits
	.p2align	6, 0x0
	.amdhsa_kernel _ZL35rocblas_iamax_iamin_kernel_part2_64ILi1024E22rocblas_reduce_amax_6424rocblas_index_64_value_tIdElEviPT1_PT2_
		.amdhsa_group_segment_fixed_size 512
		.amdhsa_private_segment_fixed_size 0
		.amdhsa_kernarg_size 24
		.amdhsa_user_sgpr_count 15
		.amdhsa_user_sgpr_dispatch_ptr 0
		.amdhsa_user_sgpr_queue_ptr 0
		.amdhsa_user_sgpr_kernarg_segment_ptr 1
		.amdhsa_user_sgpr_dispatch_id 0
		.amdhsa_user_sgpr_private_segment_size 0
		.amdhsa_wavefront_size32 1
		.amdhsa_uses_dynamic_stack 0
		.amdhsa_enable_private_segment 0
		.amdhsa_system_sgpr_workgroup_id_x 1
		.amdhsa_system_sgpr_workgroup_id_y 0
		.amdhsa_system_sgpr_workgroup_id_z 0
		.amdhsa_system_sgpr_workgroup_info 0
		.amdhsa_system_vgpr_workitem_id 0
		.amdhsa_next_free_vgpr 20
		.amdhsa_next_free_sgpr 16
		.amdhsa_reserve_vcc 1
		.amdhsa_float_round_mode_32 0
		.amdhsa_float_round_mode_16_64 0
		.amdhsa_float_denorm_mode_32 3
		.amdhsa_float_denorm_mode_16_64 3
		.amdhsa_dx10_clamp 1
		.amdhsa_ieee_mode 1
		.amdhsa_fp16_overflow 0
		.amdhsa_workgroup_processor_mode 1
		.amdhsa_memory_ordered 1
		.amdhsa_forward_progress 0
		.amdhsa_shared_vgpr_count 0
		.amdhsa_exception_fp_ieee_invalid_op 0
		.amdhsa_exception_fp_denorm_src 0
		.amdhsa_exception_fp_ieee_div_zero 0
		.amdhsa_exception_fp_ieee_overflow 0
		.amdhsa_exception_fp_ieee_underflow 0
		.amdhsa_exception_fp_ieee_inexact 0
		.amdhsa_exception_int_div_zero 0
	.end_amdhsa_kernel
	.section	.text._ZL35rocblas_iamax_iamin_kernel_part2_64ILi1024E22rocblas_reduce_amax_6424rocblas_index_64_value_tIdElEviPT1_PT2_,"axG",@progbits,_ZL35rocblas_iamax_iamin_kernel_part2_64ILi1024E22rocblas_reduce_amax_6424rocblas_index_64_value_tIdElEviPT1_PT2_,comdat
.Lfunc_end3:
	.size	_ZL35rocblas_iamax_iamin_kernel_part2_64ILi1024E22rocblas_reduce_amax_6424rocblas_index_64_value_tIdElEviPT1_PT2_, .Lfunc_end3-_ZL35rocblas_iamax_iamin_kernel_part2_64ILi1024E22rocblas_reduce_amax_6424rocblas_index_64_value_tIdElEviPT1_PT2_
                                        ; -- End function
	.section	.AMDGPU.csdata,"",@progbits
; Kernel info:
; codeLenInByte = 2564
; NumSgprs: 18
; NumVgprs: 20
; ScratchSize: 0
; MemoryBound: 0
; FloatMode: 240
; IeeeMode: 1
; LDSByteSize: 512 bytes/workgroup (compile time only)
; SGPRBlocks: 2
; VGPRBlocks: 2
; NumSGPRsForWavesPerEU: 18
; NumVGPRsForWavesPerEU: 20
; Occupancy: 16
; WaveLimiterHint : 0
; COMPUTE_PGM_RSRC2:SCRATCH_EN: 0
; COMPUTE_PGM_RSRC2:USER_SGPR: 15
; COMPUTE_PGM_RSRC2:TRAP_HANDLER: 0
; COMPUTE_PGM_RSRC2:TGID_X_EN: 1
; COMPUTE_PGM_RSRC2:TGID_Y_EN: 0
; COMPUTE_PGM_RSRC2:TGID_Z_EN: 0
; COMPUTE_PGM_RSRC2:TIDIG_COMP_CNT: 0
	.section	.text._ZL35rocblas_iamax_iamin_kernel_part1_64ILi1024E26rocblas_fetch_amax_amin_64IfE22rocblas_reduce_amax_64PK19rocblas_complex_numIfE24rocblas_index_64_value_tIfEEvlT2_lllPT3_,"axG",@progbits,_ZL35rocblas_iamax_iamin_kernel_part1_64ILi1024E26rocblas_fetch_amax_amin_64IfE22rocblas_reduce_amax_64PK19rocblas_complex_numIfE24rocblas_index_64_value_tIfEEvlT2_lllPT3_,comdat
	.globl	_ZL35rocblas_iamax_iamin_kernel_part1_64ILi1024E26rocblas_fetch_amax_amin_64IfE22rocblas_reduce_amax_64PK19rocblas_complex_numIfE24rocblas_index_64_value_tIfEEvlT2_lllPT3_ ; -- Begin function _ZL35rocblas_iamax_iamin_kernel_part1_64ILi1024E26rocblas_fetch_amax_amin_64IfE22rocblas_reduce_amax_64PK19rocblas_complex_numIfE24rocblas_index_64_value_tIfEEvlT2_lllPT3_
	.p2align	8
	.type	_ZL35rocblas_iamax_iamin_kernel_part1_64ILi1024E26rocblas_fetch_amax_amin_64IfE22rocblas_reduce_amax_64PK19rocblas_complex_numIfE24rocblas_index_64_value_tIfEEvlT2_lllPT3_,@function
_ZL35rocblas_iamax_iamin_kernel_part1_64ILi1024E26rocblas_fetch_amax_amin_64IfE22rocblas_reduce_amax_64PK19rocblas_complex_numIfE24rocblas_index_64_value_tIfEEvlT2_lllPT3_: ; @_ZL35rocblas_iamax_iamin_kernel_part1_64ILi1024E26rocblas_fetch_amax_amin_64IfE22rocblas_reduce_amax_64PK19rocblas_complex_numIfE24rocblas_index_64_value_tIfEEvlT2_lllPT3_
; %bb.0:
	s_clause 0x1
	s_load_b256 s[16:23], s[0:1], 0x0
	s_load_b128 s[8:11], s[0:1], 0x20
	s_mov_b32 s2, s15
	s_waitcnt lgkmcnt(0)
	v_cmp_lt_i64_e64 s3, s[16:17], 1
	s_delay_alu instid0(VALU_DEP_1)
	s_and_b32 vcc_lo, exec_lo, s3
	s_cbranch_vccnz .LBB4_53
; %bb.1:
	v_mbcnt_lo_u32_b32 v3, -1, 0
	v_lshl_or_b32 v14, s14, 10, v0
	s_load_b32 s5, s[0:1], 0x30
	s_mul_i32 s6, s9, s2
	s_mul_hi_u32 s7, s8, s2
	v_cmp_gt_u32_e32 vcc_lo, 16, v3
	s_add_i32 s7, s7, s6
	s_mul_i32 s6, s8, s2
	s_lshl_b64 s[8:9], s[20:21], 3
	s_lshl_b64 s[6:7], s[6:7], 3
	v_cndmask_b32_e64 v1, 0, 1, vcc_lo
	v_cmp_gt_u32_e32 vcc_lo, 24, v3
	v_cmp_gt_u32_e64 s3, 32, v0
	s_mov_b64 s[12:13], 0
                                        ; implicit-def: $vgpr22
	s_delay_alu instid0(VALU_DEP_3) | instskip(SKIP_2) | instid1(VALU_DEP_2)
	v_lshlrev_b32_e32 v1, 4, v1
	v_cndmask_b32_e64 v2, 0, 1, vcc_lo
	v_cmp_gt_u32_e32 vcc_lo, 28, v3
	v_lshlrev_b32_e32 v7, 3, v2
	v_cndmask_b32_e64 v4, 0, 1, vcc_lo
	v_cmp_gt_u32_e32 vcc_lo, 30, v3
	s_waitcnt lgkmcnt(0)
	s_lshl_b32 s15, s5, 10
	s_add_u32 s5, s18, s8
	v_add_lshl_u32 v17, v7, v3, 2
	v_lshlrev_b32_e32 v4, 2, v4
	v_cndmask_b32_e64 v6, 0, 1, vcc_lo
	v_cmp_ne_u32_e32 vcc_lo, 31, v3
	s_addc_u32 s8, s19, s9
	s_add_u32 s5, s5, s6
	s_addc_u32 s6, s8, s7
	v_lshlrev_b32_e32 v6, 1, v6
	v_add_co_ci_u32_e32 v7, vcc_lo, 0, v3, vcc_lo
	v_cmp_ne_u32_e32 vcc_lo, 0, v0
	s_mul_hi_u32 s7, s22, s15
	s_delay_alu instid0(VALU_DEP_3) | instskip(SKIP_3) | instid1(VALU_DEP_2)
	v_add_lshl_u32 v19, v6, v3, 2
	v_lshrrev_b32_e32 v6, 1, v0
	v_lshlrev_b32_e32 v20, 2, v7
	s_xor_b32 s18, vcc_lo, -1
	v_dual_mov_b32 v6, 0 :: v_dual_and_b32 v21, 0x1f0, v6
	v_add_lshl_u32 v16, v1, v3, 2
	v_mad_u64_u32 v[1:2], null, s22, v14, 0
	v_mov_b32_e32 v7, 0
	v_add_lshl_u32 v18, v4, v3, 2
	s_delay_alu instid0(VALU_DEP_3) | instskip(SKIP_1) | instid1(VALU_DEP_1)
	v_mad_u64_u32 v[3:4], null, s23, v14, v[2:3]
	v_dual_mov_b32 v4, 0 :: v_dual_and_b32 v5, 31, v0
	v_dual_mov_b32 v2, v3 :: v_dual_lshlrev_b32 v15, 4, v5
	v_cmp_eq_u32_e64 s4, 0, v5
	s_delay_alu instid0(VALU_DEP_2) | instskip(NEXT) | instid1(VALU_DEP_1)
	v_lshlrev_b64 v[1:2], 3, v[1:2]
	v_add_co_u32 v1, s5, s5, v1
	s_delay_alu instid0(VALU_DEP_1) | instskip(SKIP_1) | instid1(VALU_DEP_2)
	v_add_co_ci_u32_e64 v2, s5, s6, v2, s5
	s_mul_i32 s6, s23, s15
	v_add_co_u32 v8, s5, v1, 4
	s_delay_alu instid0(VALU_DEP_1) | instskip(SKIP_3) | instid1(SALU_CYCLE_1)
	v_add_co_ci_u32_e64 v9, s5, 0, v2, s5
	v_dual_mov_b32 v1, v6 :: v_dual_mov_b32 v2, v7
	s_add_i32 s7, s7, s6
	s_mul_i32 s6, s22, s15
	s_lshl_b64 s[8:9], s[6:7], 3
	s_branch .LBB4_4
.LBB4_2:                                ;   in Loop: Header=BB4_4 Depth=1
	s_or_b32 exec_lo, exec_lo, s7
	s_delay_alu instid0(VALU_DEP_2) | instskip(NEXT) | instid1(VALU_DEP_2)
	v_dual_mov_b32 v1, v10 :: v_dual_mov_b32 v2, v11
	v_mov_b32_e32 v3, v5
.LBB4_3:                                ;   in Loop: Header=BB4_4 Depth=1
	s_or_b32 exec_lo, exec_lo, s6
	s_add_u32 s12, s12, s15
	s_addc_u32 s13, s13, 0
	v_add_co_u32 v8, vcc_lo, v8, s8
	v_cmp_ge_i64_e64 s5, s[12:13], s[16:17]
	v_add_co_ci_u32_e32 v9, vcc_lo, s9, v9, vcc_lo
	s_delay_alu instid0(VALU_DEP_2)
	s_and_b32 vcc_lo, exec_lo, s5
	s_cbranch_vccnz .LBB4_54
.LBB4_4:                                ; =>This Inner Loop Header: Depth=1
	v_add_co_u32 v12, s5, v14, s12
	s_delay_alu instid0(VALU_DEP_1) | instskip(SKIP_2) | instid1(VALU_DEP_2)
	v_add_co_ci_u32_e64 v13, null, 0, s13, s5
	v_dual_mov_b32 v11, v7 :: v_dual_mov_b32 v10, v6
	s_mov_b32 s5, exec_lo
	v_cmpx_gt_i64_e64 s[16:17], v[12:13]
	s_cbranch_execz .LBB4_6
; %bb.5:                                ;   in Loop: Header=BB4_4 Depth=1
	global_load_b64 v[10:11], v[8:9], off offset:-4
	s_waitcnt vmcnt(0)
	v_cmp_gt_f32_e32 vcc_lo, 0, v10
	v_cndmask_b32_e64 v5, v10, -v10, vcc_lo
	v_cmp_gt_f32_e32 vcc_lo, 0, v11
	s_waitcnt lgkmcnt(0)
	v_cndmask_b32_e64 v22, v11, -v11, vcc_lo
	v_add_co_u32 v10, vcc_lo, v12, 1
	v_add_co_ci_u32_e32 v11, vcc_lo, 0, v13, vcc_lo
	s_delay_alu instid0(VALU_DEP_3)
	v_add_f32_e32 v22, v5, v22
.LBB4_6:                                ;   in Loop: Header=BB4_4 Depth=1
	s_or_b32 exec_lo, exec_lo, s5
	s_and_saveexec_b32 s5, s3
	s_cbranch_execz .LBB4_8
; %bb.7:                                ;   in Loop: Header=BB4_4 Depth=1
	v_mov_b32_e32 v5, v4
	ds_store_b64 v15, v[4:5]
	ds_store_b32 v15, v4 offset:8
.LBB4_8:                                ;   in Loop: Header=BB4_4 Depth=1
	s_or_b32 exec_lo, exec_lo, s5
	ds_bpermute_b32 v12, v16, v10
	ds_bpermute_b32 v13, v16, v11
	s_waitcnt lgkmcnt(2)
	ds_bpermute_b32 v23, v16, v22
	v_mov_b32_e32 v5, v22
	s_mov_b32 s6, exec_lo
	s_waitcnt lgkmcnt(0)
	s_barrier
	buffer_gl0_inv
	v_cmpx_ne_u64_e32 0, v[12:13]
	s_cbranch_execz .LBB4_12
; %bb.9:                                ;   in Loop: Header=BB4_4 Depth=1
	v_cmp_ne_u64_e32 vcc_lo, 0, v[10:11]
	v_cmp_nlt_f32_e64 s5, v22, v23
	s_delay_alu instid0(VALU_DEP_1) | instskip(NEXT) | instid1(SALU_CYCLE_1)
	s_and_b32 s5, vcc_lo, s5
	s_and_saveexec_b32 s7, s5
; %bb.10:                               ;   in Loop: Header=BB4_4 Depth=1
	v_cmp_lt_i64_e32 vcc_lo, v[12:13], v[10:11]
	v_cmp_eq_f32_e64 s5, v22, v23
	v_mov_b32_e32 v23, v22
	v_cndmask_b32_e32 v5, v11, v13, vcc_lo
	s_delay_alu instid0(VALU_DEP_3) | instskip(SKIP_1) | instid1(VALU_DEP_2)
	s_and_b32 vcc_lo, s5, vcc_lo
	v_cndmask_b32_e32 v12, v10, v12, vcc_lo
	v_cndmask_b32_e64 v13, v11, v5, s5
; %bb.11:                               ;   in Loop: Header=BB4_4 Depth=1
	s_or_b32 exec_lo, exec_lo, s7
	s_delay_alu instid0(VALU_DEP_2) | instskip(NEXT) | instid1(VALU_DEP_2)
	v_dual_mov_b32 v10, v12 :: v_dual_mov_b32 v5, v23
	v_dual_mov_b32 v22, v23 :: v_dual_mov_b32 v11, v13
.LBB4_12:                               ;   in Loop: Header=BB4_4 Depth=1
	s_or_b32 exec_lo, exec_lo, s6
	ds_bpermute_b32 v12, v17, v10
	ds_bpermute_b32 v13, v17, v11
	;; [unrolled: 1-line block ×3, first 2 shown]
	s_mov_b32 s6, exec_lo
	s_waitcnt lgkmcnt(1)
	v_cmpx_ne_u64_e32 0, v[12:13]
	s_cbranch_execz .LBB4_16
; %bb.13:                               ;   in Loop: Header=BB4_4 Depth=1
	v_cmp_ne_u64_e32 vcc_lo, 0, v[10:11]
	s_waitcnt lgkmcnt(0)
	v_cmp_nlt_f32_e64 s5, v5, v23
	v_mov_b32_e32 v24, v23
	s_delay_alu instid0(VALU_DEP_2) | instskip(NEXT) | instid1(SALU_CYCLE_1)
	s_and_b32 s5, vcc_lo, s5
	s_and_saveexec_b32 s7, s5
; %bb.14:                               ;   in Loop: Header=BB4_4 Depth=1
	v_cmp_lt_i64_e32 vcc_lo, v[12:13], v[10:11]
	v_cmp_eq_f32_e64 s5, v5, v23
	v_dual_mov_b32 v23, v22 :: v_dual_mov_b32 v24, v5
	v_cndmask_b32_e32 v13, v11, v13, vcc_lo
	s_delay_alu instid0(VALU_DEP_3) | instskip(SKIP_1) | instid1(VALU_DEP_2)
	s_and_b32 vcc_lo, s5, vcc_lo
	v_cndmask_b32_e32 v12, v10, v12, vcc_lo
	v_cndmask_b32_e64 v13, v11, v13, s5
; %bb.15:                               ;   in Loop: Header=BB4_4 Depth=1
	s_or_b32 exec_lo, exec_lo, s7
	s_delay_alu instid0(VALU_DEP_2) | instskip(NEXT) | instid1(VALU_DEP_2)
	v_mov_b32_e32 v10, v12
	v_dual_mov_b32 v22, v23 :: v_dual_mov_b32 v11, v13
	v_mov_b32_e32 v5, v24
.LBB4_16:                               ;   in Loop: Header=BB4_4 Depth=1
	s_or_b32 exec_lo, exec_lo, s6
	ds_bpermute_b32 v12, v18, v10
	ds_bpermute_b32 v13, v18, v11
	s_waitcnt lgkmcnt(2)
	ds_bpermute_b32 v23, v18, v22
	s_mov_b32 s6, exec_lo
	s_waitcnt lgkmcnt(1)
	v_cmpx_ne_u64_e32 0, v[12:13]
	s_cbranch_execz .LBB4_20
; %bb.17:                               ;   in Loop: Header=BB4_4 Depth=1
	v_cmp_ne_u64_e32 vcc_lo, 0, v[10:11]
	s_waitcnt lgkmcnt(0)
	v_cmp_nlt_f32_e64 s5, v5, v23
	v_mov_b32_e32 v24, v23
	s_delay_alu instid0(VALU_DEP_2) | instskip(NEXT) | instid1(SALU_CYCLE_1)
	s_and_b32 s5, vcc_lo, s5
	s_and_saveexec_b32 s7, s5
; %bb.18:                               ;   in Loop: Header=BB4_4 Depth=1
	v_cmp_lt_i64_e32 vcc_lo, v[12:13], v[10:11]
	v_cmp_eq_f32_e64 s5, v5, v23
	v_dual_mov_b32 v23, v22 :: v_dual_mov_b32 v24, v5
	v_cndmask_b32_e32 v13, v11, v13, vcc_lo
	s_delay_alu instid0(VALU_DEP_3) | instskip(SKIP_1) | instid1(VALU_DEP_2)
	s_and_b32 vcc_lo, s5, vcc_lo
	v_cndmask_b32_e32 v12, v10, v12, vcc_lo
	v_cndmask_b32_e64 v13, v11, v13, s5
; %bb.19:                               ;   in Loop: Header=BB4_4 Depth=1
	s_or_b32 exec_lo, exec_lo, s7
	s_delay_alu instid0(VALU_DEP_2) | instskip(NEXT) | instid1(VALU_DEP_2)
	v_mov_b32_e32 v10, v12
	v_dual_mov_b32 v22, v23 :: v_dual_mov_b32 v11, v13
	v_mov_b32_e32 v5, v24
.LBB4_20:                               ;   in Loop: Header=BB4_4 Depth=1
	s_or_b32 exec_lo, exec_lo, s6
	ds_bpermute_b32 v12, v19, v10
	ds_bpermute_b32 v13, v19, v11
	s_waitcnt lgkmcnt(2)
	ds_bpermute_b32 v23, v19, v22
	s_mov_b32 s6, exec_lo
	s_waitcnt lgkmcnt(1)
	v_cmpx_ne_u64_e32 0, v[12:13]
	s_cbranch_execz .LBB4_24
; %bb.21:                               ;   in Loop: Header=BB4_4 Depth=1
	v_cmp_ne_u64_e32 vcc_lo, 0, v[10:11]
	s_waitcnt lgkmcnt(0)
	v_cmp_nlt_f32_e64 s5, v5, v23
	v_mov_b32_e32 v24, v23
	s_delay_alu instid0(VALU_DEP_2) | instskip(NEXT) | instid1(SALU_CYCLE_1)
	s_and_b32 s5, vcc_lo, s5
	s_and_saveexec_b32 s7, s5
; %bb.22:                               ;   in Loop: Header=BB4_4 Depth=1
	v_cmp_lt_i64_e32 vcc_lo, v[12:13], v[10:11]
	v_cmp_eq_f32_e64 s5, v5, v23
	v_dual_mov_b32 v23, v22 :: v_dual_mov_b32 v24, v5
	v_cndmask_b32_e32 v13, v11, v13, vcc_lo
	s_delay_alu instid0(VALU_DEP_3) | instskip(SKIP_1) | instid1(VALU_DEP_2)
	s_and_b32 vcc_lo, s5, vcc_lo
	v_cndmask_b32_e32 v12, v10, v12, vcc_lo
	v_cndmask_b32_e64 v13, v11, v13, s5
; %bb.23:                               ;   in Loop: Header=BB4_4 Depth=1
	s_or_b32 exec_lo, exec_lo, s7
	s_delay_alu instid0(VALU_DEP_2) | instskip(NEXT) | instid1(VALU_DEP_2)
	v_mov_b32_e32 v10, v12
	v_dual_mov_b32 v22, v23 :: v_dual_mov_b32 v11, v13
	v_mov_b32_e32 v5, v24
.LBB4_24:                               ;   in Loop: Header=BB4_4 Depth=1
	s_or_b32 exec_lo, exec_lo, s6
	ds_bpermute_b32 v12, v20, v10
	ds_bpermute_b32 v13, v20, v11
	;; [unrolled: 1-line block ×3, first 2 shown]
	s_mov_b32 s19, exec_lo
	s_waitcnt lgkmcnt(1)
	v_cmpx_ne_u64_e32 0, v[12:13]
	s_cbranch_execz .LBB4_26
; %bb.25:                               ;   in Loop: Header=BB4_4 Depth=1
	v_cmp_lt_i64_e32 vcc_lo, v[12:13], v[10:11]
	s_waitcnt lgkmcnt(0)
	v_cmp_eq_f32_e64 s5, v5, v22
	v_cmp_eq_u64_e64 s6, 0, v[10:11]
	v_cmp_lt_f32_e64 s7, v5, v22
	s_delay_alu instid0(VALU_DEP_3) | instskip(NEXT) | instid1(VALU_DEP_1)
	s_and_b32 vcc_lo, s5, vcc_lo
	s_or_b32 s5, s6, s7
	v_cndmask_b32_e32 v11, v11, v13, vcc_lo
	s_or_b32 vcc_lo, s5, vcc_lo
	v_cndmask_b32_e64 v5, v5, v22, s5
	v_cndmask_b32_e32 v10, v10, v12, vcc_lo
	s_delay_alu instid0(VALU_DEP_3)
	v_cndmask_b32_e64 v11, v11, v13, s5
.LBB4_26:                               ;   in Loop: Header=BB4_4 Depth=1
	s_or_b32 exec_lo, exec_lo, s19
	s_and_saveexec_b32 s5, s4
	s_cbranch_execz .LBB4_28
; %bb.27:                               ;   in Loop: Header=BB4_4 Depth=1
	ds_store_b64 v21, v[10:11]
	ds_store_b32 v21, v5 offset:8
.LBB4_28:                               ;   in Loop: Header=BB4_4 Depth=1
	s_or_b32 exec_lo, exec_lo, s5
	v_mov_b32_e32 v10, 0
	s_waitcnt lgkmcnt(0)
	v_dual_mov_b32 v11, 0 :: v_dual_mov_b32 v22, 0
	s_barrier
	buffer_gl0_inv
	s_and_saveexec_b32 s5, s3
	s_cbranch_execz .LBB4_30
; %bb.29:                               ;   in Loop: Header=BB4_4 Depth=1
	ds_load_b64 v[10:11], v15
	ds_load_b32 v22, v15 offset:8
.LBB4_30:                               ;   in Loop: Header=BB4_4 Depth=1
	s_or_b32 exec_lo, exec_lo, s5
	s_and_saveexec_b32 s19, s3
	s_cbranch_execz .LBB4_50
; %bb.31:                               ;   in Loop: Header=BB4_4 Depth=1
	s_waitcnt lgkmcnt(1)
	ds_bpermute_b32 v12, v16, v10
	ds_bpermute_b32 v13, v16, v11
	s_waitcnt lgkmcnt(2)
	ds_bpermute_b32 v23, v16, v22
	v_mov_b32_e32 v5, v22
	s_mov_b32 s6, exec_lo
	s_waitcnt lgkmcnt(1)
	v_cmpx_ne_u64_e32 0, v[12:13]
	s_cbranch_execz .LBB4_35
; %bb.32:                               ;   in Loop: Header=BB4_4 Depth=1
	v_cmp_ne_u64_e32 vcc_lo, 0, v[10:11]
	s_waitcnt lgkmcnt(0)
	v_cmp_nlt_f32_e64 s5, v22, v23
	s_delay_alu instid0(VALU_DEP_1) | instskip(NEXT) | instid1(SALU_CYCLE_1)
	s_and_b32 s5, vcc_lo, s5
	s_and_saveexec_b32 s7, s5
; %bb.33:                               ;   in Loop: Header=BB4_4 Depth=1
	v_cmp_lt_i64_e32 vcc_lo, v[12:13], v[10:11]
	v_cmp_eq_f32_e64 s5, v22, v23
	v_mov_b32_e32 v23, v22
	v_cndmask_b32_e32 v5, v11, v13, vcc_lo
	s_delay_alu instid0(VALU_DEP_3) | instskip(SKIP_1) | instid1(VALU_DEP_2)
	s_and_b32 vcc_lo, s5, vcc_lo
	v_cndmask_b32_e32 v12, v10, v12, vcc_lo
	v_cndmask_b32_e64 v13, v11, v5, s5
; %bb.34:                               ;   in Loop: Header=BB4_4 Depth=1
	s_or_b32 exec_lo, exec_lo, s7
	s_delay_alu instid0(VALU_DEP_2) | instskip(NEXT) | instid1(VALU_DEP_2)
	v_dual_mov_b32 v10, v12 :: v_dual_mov_b32 v5, v23
	v_dual_mov_b32 v22, v23 :: v_dual_mov_b32 v11, v13
.LBB4_35:                               ;   in Loop: Header=BB4_4 Depth=1
	s_or_b32 exec_lo, exec_lo, s6
	ds_bpermute_b32 v12, v17, v10
	ds_bpermute_b32 v13, v17, v11
	s_waitcnt lgkmcnt(2)
	ds_bpermute_b32 v23, v17, v22
	s_mov_b32 s6, exec_lo
	s_waitcnt lgkmcnt(1)
	v_cmpx_ne_u64_e32 0, v[12:13]
	s_cbranch_execz .LBB4_39
; %bb.36:                               ;   in Loop: Header=BB4_4 Depth=1
	v_cmp_ne_u64_e32 vcc_lo, 0, v[10:11]
	s_waitcnt lgkmcnt(0)
	v_cmp_nlt_f32_e64 s5, v5, v23
	v_mov_b32_e32 v24, v23
	s_delay_alu instid0(VALU_DEP_2) | instskip(NEXT) | instid1(SALU_CYCLE_1)
	s_and_b32 s5, vcc_lo, s5
	s_and_saveexec_b32 s7, s5
; %bb.37:                               ;   in Loop: Header=BB4_4 Depth=1
	v_cmp_lt_i64_e32 vcc_lo, v[12:13], v[10:11]
	v_cmp_eq_f32_e64 s5, v5, v23
	v_dual_mov_b32 v23, v22 :: v_dual_mov_b32 v24, v5
	v_cndmask_b32_e32 v13, v11, v13, vcc_lo
	s_delay_alu instid0(VALU_DEP_3) | instskip(SKIP_1) | instid1(VALU_DEP_2)
	s_and_b32 vcc_lo, s5, vcc_lo
	v_cndmask_b32_e32 v12, v10, v12, vcc_lo
	v_cndmask_b32_e64 v13, v11, v13, s5
; %bb.38:                               ;   in Loop: Header=BB4_4 Depth=1
	s_or_b32 exec_lo, exec_lo, s7
	s_delay_alu instid0(VALU_DEP_2) | instskip(NEXT) | instid1(VALU_DEP_2)
	v_mov_b32_e32 v10, v12
	v_dual_mov_b32 v22, v23 :: v_dual_mov_b32 v11, v13
	v_mov_b32_e32 v5, v24
.LBB4_39:                               ;   in Loop: Header=BB4_4 Depth=1
	s_or_b32 exec_lo, exec_lo, s6
	ds_bpermute_b32 v12, v18, v10
	ds_bpermute_b32 v13, v18, v11
	s_waitcnt lgkmcnt(2)
	ds_bpermute_b32 v23, v18, v22
	s_mov_b32 s6, exec_lo
	s_waitcnt lgkmcnt(1)
	v_cmpx_ne_u64_e32 0, v[12:13]
	s_cbranch_execz .LBB4_43
; %bb.40:                               ;   in Loop: Header=BB4_4 Depth=1
	v_cmp_ne_u64_e32 vcc_lo, 0, v[10:11]
	s_waitcnt lgkmcnt(0)
	v_cmp_nlt_f32_e64 s5, v5, v23
	v_mov_b32_e32 v24, v23
	s_delay_alu instid0(VALU_DEP_2) | instskip(NEXT) | instid1(SALU_CYCLE_1)
	s_and_b32 s5, vcc_lo, s5
	s_and_saveexec_b32 s7, s5
; %bb.41:                               ;   in Loop: Header=BB4_4 Depth=1
	v_cmp_lt_i64_e32 vcc_lo, v[12:13], v[10:11]
	v_cmp_eq_f32_e64 s5, v5, v23
	v_dual_mov_b32 v23, v22 :: v_dual_mov_b32 v24, v5
	v_cndmask_b32_e32 v13, v11, v13, vcc_lo
	s_delay_alu instid0(VALU_DEP_3) | instskip(SKIP_1) | instid1(VALU_DEP_2)
	s_and_b32 vcc_lo, s5, vcc_lo
	v_cndmask_b32_e32 v12, v10, v12, vcc_lo
	v_cndmask_b32_e64 v13, v11, v13, s5
; %bb.42:                               ;   in Loop: Header=BB4_4 Depth=1
	s_or_b32 exec_lo, exec_lo, s7
	s_delay_alu instid0(VALU_DEP_2) | instskip(NEXT) | instid1(VALU_DEP_2)
	v_mov_b32_e32 v10, v12
	v_dual_mov_b32 v22, v23 :: v_dual_mov_b32 v11, v13
	v_mov_b32_e32 v5, v24
.LBB4_43:                               ;   in Loop: Header=BB4_4 Depth=1
	;; [unrolled: 33-line block ×3, first 2 shown]
	s_or_b32 exec_lo, exec_lo, s6
	ds_bpermute_b32 v12, v20, v10
	ds_bpermute_b32 v13, v20, v11
	;; [unrolled: 1-line block ×3, first 2 shown]
	s_mov_b32 s20, exec_lo
	s_waitcnt lgkmcnt(1)
	v_cmpx_ne_u64_e32 0, v[12:13]
	s_cbranch_execz .LBB4_49
; %bb.48:                               ;   in Loop: Header=BB4_4 Depth=1
	v_cmp_lt_i64_e32 vcc_lo, v[12:13], v[10:11]
	s_waitcnt lgkmcnt(0)
	v_cmp_eq_f32_e64 s5, v5, v22
	v_cmp_eq_u64_e64 s6, 0, v[10:11]
	v_cmp_lt_f32_e64 s7, v5, v22
	s_delay_alu instid0(VALU_DEP_3) | instskip(NEXT) | instid1(VALU_DEP_1)
	s_and_b32 vcc_lo, s5, vcc_lo
	s_or_b32 s5, s6, s7
	v_cndmask_b32_e32 v11, v11, v13, vcc_lo
	s_or_b32 vcc_lo, s5, vcc_lo
	v_cndmask_b32_e64 v5, v5, v22, s5
	v_cndmask_b32_e32 v10, v10, v12, vcc_lo
	s_delay_alu instid0(VALU_DEP_3)
	v_cndmask_b32_e64 v11, v11, v13, s5
.LBB4_49:                               ;   in Loop: Header=BB4_4 Depth=1
	s_or_b32 exec_lo, exec_lo, s20
	s_waitcnt lgkmcnt(0)
	v_mov_b32_e32 v22, v5
.LBB4_50:                               ;   in Loop: Header=BB4_4 Depth=1
	s_or_b32 exec_lo, exec_lo, s19
	s_waitcnt lgkmcnt(1)
	v_cmp_ne_u64_e32 vcc_lo, 0, v[10:11]
	s_and_b32 s5, s18, vcc_lo
	s_delay_alu instid0(SALU_CYCLE_1)
	s_and_saveexec_b32 s6, s5
	s_cbranch_execz .LBB4_3
; %bb.51:                               ;   in Loop: Header=BB4_4 Depth=1
	v_cmp_ne_u64_e32 vcc_lo, 0, v[1:2]
	s_waitcnt lgkmcnt(0)
	v_cmp_ngt_f32_e64 s5, v22, v3
	v_mov_b32_e32 v5, v22
	s_delay_alu instid0(VALU_DEP_2) | instskip(NEXT) | instid1(SALU_CYCLE_1)
	s_and_b32 s5, vcc_lo, s5
	s_and_saveexec_b32 s7, s5
	s_cbranch_execz .LBB4_2
; %bb.52:                               ;   in Loop: Header=BB4_4 Depth=1
	v_cmp_lt_i64_e32 vcc_lo, v[10:11], v[1:2]
	v_cmp_eq_f32_e64 s5, v3, v22
	v_cndmask_b32_e32 v5, v2, v11, vcc_lo
	s_delay_alu instid0(VALU_DEP_2) | instskip(SKIP_1) | instid1(VALU_DEP_2)
	s_and_b32 vcc_lo, s5, vcc_lo
	v_cndmask_b32_e32 v10, v1, v10, vcc_lo
	v_cndmask_b32_e64 v11, v2, v5, s5
	v_mov_b32_e32 v5, v3
	s_branch .LBB4_2
.LBB4_53:
	v_mov_b32_e32 v1, 0
	v_mov_b32_e32 v2, 0
.LBB4_54:
	s_mov_b32 s15, 0
	s_mov_b32 s3, exec_lo
	v_cmpx_eq_u32_e32 0, v0
	s_cbranch_execz .LBB4_56
; %bb.55:
	s_load_b32 s0, s[0:1], 0x30
	v_mov_b32_e32 v0, 0
	s_waitcnt lgkmcnt(0)
	s_mul_hi_u32 s1, s0, s2
	s_mul_i32 s0, s0, s2
	s_delay_alu instid0(SALU_CYCLE_1) | instskip(NEXT) | instid1(SALU_CYCLE_1)
	s_lshl_b64 s[0:1], s[0:1], 4
	s_add_u32 s2, s10, s0
	s_addc_u32 s3, s11, s1
	s_lshl_b64 s[0:1], s[14:15], 4
	s_delay_alu instid0(SALU_CYCLE_1)
	s_add_u32 s0, s2, s0
	s_addc_u32 s1, s3, s1
	global_store_b96 v0, v[1:3], s[0:1]
.LBB4_56:
	s_nop 0
	s_sendmsg sendmsg(MSG_DEALLOC_VGPRS)
	s_endpgm
	.section	.rodata,"a",@progbits
	.p2align	6, 0x0
	.amdhsa_kernel _ZL35rocblas_iamax_iamin_kernel_part1_64ILi1024E26rocblas_fetch_amax_amin_64IfE22rocblas_reduce_amax_64PK19rocblas_complex_numIfE24rocblas_index_64_value_tIfEEvlT2_lllPT3_
		.amdhsa_group_segment_fixed_size 512
		.amdhsa_private_segment_fixed_size 0
		.amdhsa_kernarg_size 304
		.amdhsa_user_sgpr_count 14
		.amdhsa_user_sgpr_dispatch_ptr 0
		.amdhsa_user_sgpr_queue_ptr 0
		.amdhsa_user_sgpr_kernarg_segment_ptr 1
		.amdhsa_user_sgpr_dispatch_id 0
		.amdhsa_user_sgpr_private_segment_size 0
		.amdhsa_wavefront_size32 1
		.amdhsa_uses_dynamic_stack 0
		.amdhsa_enable_private_segment 0
		.amdhsa_system_sgpr_workgroup_id_x 1
		.amdhsa_system_sgpr_workgroup_id_y 0
		.amdhsa_system_sgpr_workgroup_id_z 1
		.amdhsa_system_sgpr_workgroup_info 0
		.amdhsa_system_vgpr_workitem_id 0
		.amdhsa_next_free_vgpr 25
		.amdhsa_next_free_sgpr 24
		.amdhsa_reserve_vcc 1
		.amdhsa_float_round_mode_32 0
		.amdhsa_float_round_mode_16_64 0
		.amdhsa_float_denorm_mode_32 3
		.amdhsa_float_denorm_mode_16_64 3
		.amdhsa_dx10_clamp 1
		.amdhsa_ieee_mode 1
		.amdhsa_fp16_overflow 0
		.amdhsa_workgroup_processor_mode 1
		.amdhsa_memory_ordered 1
		.amdhsa_forward_progress 0
		.amdhsa_shared_vgpr_count 0
		.amdhsa_exception_fp_ieee_invalid_op 0
		.amdhsa_exception_fp_denorm_src 0
		.amdhsa_exception_fp_ieee_div_zero 0
		.amdhsa_exception_fp_ieee_overflow 0
		.amdhsa_exception_fp_ieee_underflow 0
		.amdhsa_exception_fp_ieee_inexact 0
		.amdhsa_exception_int_div_zero 0
	.end_amdhsa_kernel
	.section	.text._ZL35rocblas_iamax_iamin_kernel_part1_64ILi1024E26rocblas_fetch_amax_amin_64IfE22rocblas_reduce_amax_64PK19rocblas_complex_numIfE24rocblas_index_64_value_tIfEEvlT2_lllPT3_,"axG",@progbits,_ZL35rocblas_iamax_iamin_kernel_part1_64ILi1024E26rocblas_fetch_amax_amin_64IfE22rocblas_reduce_amax_64PK19rocblas_complex_numIfE24rocblas_index_64_value_tIfEEvlT2_lllPT3_,comdat
.Lfunc_end4:
	.size	_ZL35rocblas_iamax_iamin_kernel_part1_64ILi1024E26rocblas_fetch_amax_amin_64IfE22rocblas_reduce_amax_64PK19rocblas_complex_numIfE24rocblas_index_64_value_tIfEEvlT2_lllPT3_, .Lfunc_end4-_ZL35rocblas_iamax_iamin_kernel_part1_64ILi1024E26rocblas_fetch_amax_amin_64IfE22rocblas_reduce_amax_64PK19rocblas_complex_numIfE24rocblas_index_64_value_tIfEEvlT2_lllPT3_
                                        ; -- End function
	.section	.AMDGPU.csdata,"",@progbits
; Kernel info:
; codeLenInByte = 2340
; NumSgprs: 26
; NumVgprs: 25
; ScratchSize: 0
; MemoryBound: 0
; FloatMode: 240
; IeeeMode: 1
; LDSByteSize: 512 bytes/workgroup (compile time only)
; SGPRBlocks: 3
; VGPRBlocks: 3
; NumSGPRsForWavesPerEU: 26
; NumVGPRsForWavesPerEU: 25
; Occupancy: 16
; WaveLimiterHint : 0
; COMPUTE_PGM_RSRC2:SCRATCH_EN: 0
; COMPUTE_PGM_RSRC2:USER_SGPR: 14
; COMPUTE_PGM_RSRC2:TRAP_HANDLER: 0
; COMPUTE_PGM_RSRC2:TGID_X_EN: 1
; COMPUTE_PGM_RSRC2:TGID_Y_EN: 0
; COMPUTE_PGM_RSRC2:TGID_Z_EN: 1
; COMPUTE_PGM_RSRC2:TIDIG_COMP_CNT: 0
	.section	.text._ZL35rocblas_iamax_iamin_kernel_part1_64ILi1024E26rocblas_fetch_amax_amin_64IdE22rocblas_reduce_amax_64PK19rocblas_complex_numIdE24rocblas_index_64_value_tIdEEvlT2_lllPT3_,"axG",@progbits,_ZL35rocblas_iamax_iamin_kernel_part1_64ILi1024E26rocblas_fetch_amax_amin_64IdE22rocblas_reduce_amax_64PK19rocblas_complex_numIdE24rocblas_index_64_value_tIdEEvlT2_lllPT3_,comdat
	.globl	_ZL35rocblas_iamax_iamin_kernel_part1_64ILi1024E26rocblas_fetch_amax_amin_64IdE22rocblas_reduce_amax_64PK19rocblas_complex_numIdE24rocblas_index_64_value_tIdEEvlT2_lllPT3_ ; -- Begin function _ZL35rocblas_iamax_iamin_kernel_part1_64ILi1024E26rocblas_fetch_amax_amin_64IdE22rocblas_reduce_amax_64PK19rocblas_complex_numIdE24rocblas_index_64_value_tIdEEvlT2_lllPT3_
	.p2align	8
	.type	_ZL35rocblas_iamax_iamin_kernel_part1_64ILi1024E26rocblas_fetch_amax_amin_64IdE22rocblas_reduce_amax_64PK19rocblas_complex_numIdE24rocblas_index_64_value_tIdEEvlT2_lllPT3_,@function
_ZL35rocblas_iamax_iamin_kernel_part1_64ILi1024E26rocblas_fetch_amax_amin_64IdE22rocblas_reduce_amax_64PK19rocblas_complex_numIdE24rocblas_index_64_value_tIdEEvlT2_lllPT3_: ; @_ZL35rocblas_iamax_iamin_kernel_part1_64ILi1024E26rocblas_fetch_amax_amin_64IdE22rocblas_reduce_amax_64PK19rocblas_complex_numIdE24rocblas_index_64_value_tIdEEvlT2_lllPT3_
; %bb.0:
	s_clause 0x1
	s_load_b256 s[16:23], s[0:1], 0x0
	s_load_b128 s[8:11], s[0:1], 0x20
	s_mov_b32 s2, s15
	s_waitcnt lgkmcnt(0)
	v_cmp_lt_i64_e64 s3, s[16:17], 1
	s_delay_alu instid0(VALU_DEP_1)
	s_and_b32 vcc_lo, exec_lo, s3
	s_cbranch_vccnz .LBB5_53
; %bb.1:
	v_mbcnt_lo_u32_b32 v3, -1, 0
	v_lshl_or_b32 v23, s14, 10, v0
	s_load_b32 s5, s[0:1], 0x30
	s_mul_i32 s6, s9, s2
	s_mul_hi_u32 s7, s8, s2
	v_cmp_gt_u32_e32 vcc_lo, 16, v3
	s_add_i32 s7, s7, s6
	s_mul_i32 s6, s8, s2
	s_lshl_b64 s[8:9], s[20:21], 4
	s_lshl_b64 s[6:7], s[6:7], 4
	v_cndmask_b32_e64 v1, 0, 1, vcc_lo
	v_cmp_gt_u32_e32 vcc_lo, 24, v3
	v_cmp_gt_u32_e64 s3, 32, v0
	s_mov_b64 s[12:13], 0
                                        ; implicit-def: $vgpr9_vgpr10
	v_mov_b32_e32 v15, 0
	v_dual_mov_b32 v16, 0 :: v_dual_lshlrev_b32 v1, 4, v1
	v_cndmask_b32_e64 v2, 0, 1, vcc_lo
	v_cmp_gt_u32_e32 vcc_lo, 28, v3
	s_delay_alu instid0(VALU_DEP_3) | instskip(NEXT) | instid1(VALU_DEP_3)
	v_add_lshl_u32 v25, v1, v3, 2
	v_lshlrev_b32_e32 v7, 3, v2
	v_cndmask_b32_e64 v4, 0, 1, vcc_lo
	v_cmp_gt_u32_e32 vcc_lo, 30, v3
	v_mad_u64_u32 v[1:2], null, s22, v23, 0
	s_waitcnt lgkmcnt(0)
	s_lshl_b32 s15, s5, 10
	v_lshlrev_b32_e32 v4, 2, v4
	v_cndmask_b32_e64 v6, 0, 1, vcc_lo
	v_cmp_ne_u32_e32 vcc_lo, 31, v3
	v_add_lshl_u32 v26, v7, v3, 2
	s_add_u32 s5, s18, s8
	v_add_lshl_u32 v27, v4, v3, 2
	v_lshlrev_b32_e32 v6, 1, v6
	v_add_co_ci_u32_e32 v7, vcc_lo, 0, v3, vcc_lo
	s_addc_u32 s8, s19, s9
	s_add_u32 s5, s5, s6
	s_delay_alu instid0(VALU_DEP_2)
	v_add_lshl_u32 v28, v6, v3, 2
	v_mad_u64_u32 v[3:4], null, s23, v23, v[2:3]
	v_and_b32_e32 v5, 31, v0
	s_addc_u32 s6, s8, s7
	v_lshrrev_b32_e32 v6, 1, v0
	v_cmp_ne_u32_e32 vcc_lo, 0, v0
	s_mul_hi_u32 s7, s22, s15
	s_delay_alu instid0(VALU_DEP_4) | instskip(SKIP_3) | instid1(VALU_DEP_4)
	v_dual_mov_b32 v2, v3 :: v_dual_lshlrev_b32 v29, 2, v7
	v_lshlrev_b32_e32 v24, 4, v5
	v_cmp_eq_u32_e64 s4, 0, v5
	v_dual_mov_b32 v5, 0 :: v_dual_and_b32 v30, 0x1f0, v6
	v_lshlrev_b64 v[1:2], 4, v[1:2]
	s_xor_b32 s18, vcc_lo, -1
	s_delay_alu instid0(VALU_DEP_1) | instskip(NEXT) | instid1(VALU_DEP_1)
	v_add_co_u32 v1, s5, s5, v1
	v_add_co_ci_u32_e64 v2, s5, s6, v2, s5
	s_mul_i32 s6, s23, s15
	s_delay_alu instid0(VALU_DEP_2) | instskip(NEXT) | instid1(VALU_DEP_1)
	v_add_co_u32 v17, s5, v1, 8
	v_add_co_ci_u32_e64 v18, s5, 0, v2, s5
	v_dual_mov_b32 v1, v15 :: v_dual_mov_b32 v2, v16
	s_add_i32 s7, s7, s6
	s_mul_i32 s6, s22, s15
	s_delay_alu instid0(SALU_CYCLE_1)
	s_lshl_b64 s[8:9], s[6:7], 4
	s_branch .LBB5_4
.LBB5_2:                                ;   in Loop: Header=BB5_4 Depth=1
	s_or_b32 exec_lo, exec_lo, s7
	s_delay_alu instid0(VALU_DEP_1)
	v_dual_mov_b32 v1, v7 :: v_dual_mov_b32 v2, v8
	v_dual_mov_b32 v3, v11 :: v_dual_mov_b32 v4, v12
.LBB5_3:                                ;   in Loop: Header=BB5_4 Depth=1
	s_or_b32 exec_lo, exec_lo, s6
	s_add_u32 s12, s12, s15
	s_addc_u32 s13, s13, 0
	v_add_co_u32 v17, vcc_lo, v17, s8
	v_cmp_ge_i64_e64 s5, s[12:13], s[16:17]
	v_add_co_ci_u32_e32 v18, vcc_lo, s9, v18, vcc_lo
	s_delay_alu instid0(VALU_DEP_2)
	s_and_b32 vcc_lo, exec_lo, s5
	s_cbranch_vccnz .LBB5_54
.LBB5_4:                                ; =>This Inner Loop Header: Depth=1
	v_add_co_u32 v6, s5, v23, s12
	s_delay_alu instid0(VALU_DEP_1) | instskip(SKIP_2) | instid1(VALU_DEP_2)
	v_add_co_ci_u32_e64 v7, null, 0, s13, s5
	v_dual_mov_b32 v11, v15 :: v_dual_mov_b32 v12, v16
	s_mov_b32 s5, exec_lo
	v_cmpx_gt_i64_e64 s[16:17], v[6:7]
	s_cbranch_execz .LBB5_6
; %bb.5:                                ;   in Loop: Header=BB5_4 Depth=1
	global_load_b128 v[8:11], v[17:18], off offset:-8
	s_waitcnt vmcnt(0)
	v_cmp_gt_f64_e32 vcc_lo, 0, v[8:9]
	v_xor_b32_e32 v12, 0x80000000, v9
	v_xor_b32_e32 v13, 0x80000000, v11
	s_delay_alu instid0(VALU_DEP_2) | instskip(SKIP_1) | instid1(VALU_DEP_3)
	v_cndmask_b32_e32 v9, v9, v12, vcc_lo
	v_cmp_gt_f64_e32 vcc_lo, 0, v[10:11]
	v_cndmask_b32_e32 v11, v11, v13, vcc_lo
	s_delay_alu instid0(VALU_DEP_1)
	v_add_f64 v[9:10], v[8:9], v[10:11]
	v_add_co_u32 v11, vcc_lo, v6, 1
	v_add_co_ci_u32_e32 v12, vcc_lo, 0, v7, vcc_lo
.LBB5_6:                                ;   in Loop: Header=BB5_4 Depth=1
	s_or_b32 exec_lo, exec_lo, s5
	s_and_saveexec_b32 s5, s3
	s_cbranch_execz .LBB5_8
; %bb.7:                                ;   in Loop: Header=BB5_4 Depth=1
	v_mov_b32_e32 v6, v5
	v_mov_b32_e32 v7, v5
	;; [unrolled: 1-line block ×3, first 2 shown]
	ds_store_b128 v24, v[5:8]
.LBB5_8:                                ;   in Loop: Header=BB5_4 Depth=1
	s_or_b32 exec_lo, exec_lo, s5
	ds_bpermute_b32 v6, v25, v11
	ds_bpermute_b32 v7, v25, v12
	ds_bpermute_b32 v19, v25, v9
	ds_bpermute_b32 v20, v25, v10
	v_dual_mov_b32 v14, v10 :: v_dual_mov_b32 v13, v9
	s_mov_b32 s6, exec_lo
	s_waitcnt lgkmcnt(0)
	s_barrier
	buffer_gl0_inv
	v_cmpx_ne_u64_e32 0, v[6:7]
	s_cbranch_execz .LBB5_12
; %bb.9:                                ;   in Loop: Header=BB5_4 Depth=1
	v_cmp_nlt_f64_e32 vcc_lo, v[9:10], v[19:20]
	v_cmp_ne_u64_e64 s5, 0, v[11:12]
	v_dual_mov_b32 v13, v19 :: v_dual_mov_b32 v14, v20
	s_delay_alu instid0(VALU_DEP_2) | instskip(NEXT) | instid1(SALU_CYCLE_1)
	s_and_b32 s5, s5, vcc_lo
	s_and_saveexec_b32 s7, s5
; %bb.10:                               ;   in Loop: Header=BB5_4 Depth=1
	v_cmp_eq_f64_e64 s5, v[9:10], v[19:20]
	v_cmp_lt_i64_e32 vcc_lo, v[6:7], v[11:12]
	v_dual_mov_b32 v19, v9 :: v_dual_mov_b32 v20, v10
	v_dual_mov_b32 v14, v10 :: v_dual_cndmask_b32 v7, v12, v7
	s_delay_alu instid0(VALU_DEP_4) | instskip(SKIP_1) | instid1(VALU_DEP_2)
	s_and_b32 vcc_lo, s5, vcc_lo
	v_dual_mov_b32 v13, v9 :: v_dual_cndmask_b32 v6, v11, v6
	v_cndmask_b32_e64 v7, v12, v7, s5
; %bb.11:                               ;   in Loop: Header=BB5_4 Depth=1
	s_or_b32 exec_lo, exec_lo, s7
	v_dual_mov_b32 v10, v20 :: v_dual_mov_b32 v9, v19
	s_delay_alu instid0(VALU_DEP_2)
	v_dual_mov_b32 v12, v7 :: v_dual_mov_b32 v11, v6
.LBB5_12:                               ;   in Loop: Header=BB5_4 Depth=1
	s_or_b32 exec_lo, exec_lo, s6
	ds_bpermute_b32 v6, v26, v11
	ds_bpermute_b32 v7, v26, v12
	;; [unrolled: 1-line block ×4, first 2 shown]
	s_mov_b32 s6, exec_lo
	s_waitcnt lgkmcnt(2)
	v_cmpx_ne_u64_e32 0, v[6:7]
	s_cbranch_execz .LBB5_16
; %bb.13:                               ;   in Loop: Header=BB5_4 Depth=1
	s_waitcnt lgkmcnt(0)
	v_cmp_nlt_f64_e32 vcc_lo, v[13:14], v[19:20]
	v_cmp_ne_u64_e64 s5, 0, v[11:12]
	v_dual_mov_b32 v22, v20 :: v_dual_mov_b32 v21, v19
	s_delay_alu instid0(VALU_DEP_2) | instskip(NEXT) | instid1(SALU_CYCLE_1)
	s_and_b32 s5, s5, vcc_lo
	s_and_saveexec_b32 s7, s5
; %bb.14:                               ;   in Loop: Header=BB5_4 Depth=1
	v_cmp_eq_f64_e64 s5, v[13:14], v[19:20]
	v_cmp_lt_i64_e32 vcc_lo, v[6:7], v[11:12]
	v_dual_mov_b32 v19, v9 :: v_dual_mov_b32 v20, v10
	v_dual_mov_b32 v22, v14 :: v_dual_cndmask_b32 v7, v12, v7
	s_delay_alu instid0(VALU_DEP_4) | instskip(SKIP_1) | instid1(VALU_DEP_2)
	s_and_b32 vcc_lo, s5, vcc_lo
	v_dual_mov_b32 v21, v13 :: v_dual_cndmask_b32 v6, v11, v6
	v_cndmask_b32_e64 v7, v12, v7, s5
; %bb.15:                               ;   in Loop: Header=BB5_4 Depth=1
	s_or_b32 exec_lo, exec_lo, s7
	v_dual_mov_b32 v10, v20 :: v_dual_mov_b32 v9, v19
	s_delay_alu instid0(VALU_DEP_2)
	v_dual_mov_b32 v12, v7 :: v_dual_mov_b32 v11, v6
	v_dual_mov_b32 v13, v21 :: v_dual_mov_b32 v14, v22
.LBB5_16:                               ;   in Loop: Header=BB5_4 Depth=1
	s_or_b32 exec_lo, exec_lo, s6
	ds_bpermute_b32 v6, v27, v11
	ds_bpermute_b32 v7, v27, v12
	s_waitcnt lgkmcnt(3)
	ds_bpermute_b32 v19, v27, v9
	s_waitcnt lgkmcnt(3)
	ds_bpermute_b32 v20, v27, v10
	s_mov_b32 s6, exec_lo
	s_waitcnt lgkmcnt(2)
	v_cmpx_ne_u64_e32 0, v[6:7]
	s_cbranch_execz .LBB5_20
; %bb.17:                               ;   in Loop: Header=BB5_4 Depth=1
	s_waitcnt lgkmcnt(0)
	v_cmp_nlt_f64_e32 vcc_lo, v[13:14], v[19:20]
	v_cmp_ne_u64_e64 s5, 0, v[11:12]
	v_dual_mov_b32 v22, v20 :: v_dual_mov_b32 v21, v19
	s_delay_alu instid0(VALU_DEP_2) | instskip(NEXT) | instid1(SALU_CYCLE_1)
	s_and_b32 s5, s5, vcc_lo
	s_and_saveexec_b32 s7, s5
; %bb.18:                               ;   in Loop: Header=BB5_4 Depth=1
	v_cmp_eq_f64_e64 s5, v[13:14], v[19:20]
	v_cmp_lt_i64_e32 vcc_lo, v[6:7], v[11:12]
	v_dual_mov_b32 v19, v9 :: v_dual_mov_b32 v20, v10
	v_dual_mov_b32 v22, v14 :: v_dual_cndmask_b32 v7, v12, v7
	s_delay_alu instid0(VALU_DEP_4) | instskip(SKIP_1) | instid1(VALU_DEP_2)
	s_and_b32 vcc_lo, s5, vcc_lo
	v_dual_mov_b32 v21, v13 :: v_dual_cndmask_b32 v6, v11, v6
	v_cndmask_b32_e64 v7, v12, v7, s5
; %bb.19:                               ;   in Loop: Header=BB5_4 Depth=1
	s_or_b32 exec_lo, exec_lo, s7
	v_dual_mov_b32 v10, v20 :: v_dual_mov_b32 v9, v19
	s_delay_alu instid0(VALU_DEP_2)
	v_dual_mov_b32 v12, v7 :: v_dual_mov_b32 v11, v6
	v_dual_mov_b32 v13, v21 :: v_dual_mov_b32 v14, v22
.LBB5_20:                               ;   in Loop: Header=BB5_4 Depth=1
	s_or_b32 exec_lo, exec_lo, s6
	ds_bpermute_b32 v6, v28, v11
	ds_bpermute_b32 v7, v28, v12
	s_waitcnt lgkmcnt(3)
	ds_bpermute_b32 v19, v28, v9
	s_waitcnt lgkmcnt(3)
	ds_bpermute_b32 v20, v28, v10
	s_mov_b32 s6, exec_lo
	s_waitcnt lgkmcnt(2)
	v_cmpx_ne_u64_e32 0, v[6:7]
	s_cbranch_execz .LBB5_24
; %bb.21:                               ;   in Loop: Header=BB5_4 Depth=1
	s_waitcnt lgkmcnt(0)
	v_cmp_nlt_f64_e32 vcc_lo, v[13:14], v[19:20]
	v_cmp_ne_u64_e64 s5, 0, v[11:12]
	v_dual_mov_b32 v22, v20 :: v_dual_mov_b32 v21, v19
	s_delay_alu instid0(VALU_DEP_2) | instskip(NEXT) | instid1(SALU_CYCLE_1)
	s_and_b32 s5, s5, vcc_lo
	s_and_saveexec_b32 s7, s5
; %bb.22:                               ;   in Loop: Header=BB5_4 Depth=1
	v_cmp_eq_f64_e64 s5, v[13:14], v[19:20]
	v_cmp_lt_i64_e32 vcc_lo, v[6:7], v[11:12]
	v_dual_mov_b32 v19, v9 :: v_dual_mov_b32 v20, v10
	v_dual_mov_b32 v22, v14 :: v_dual_cndmask_b32 v7, v12, v7
	s_delay_alu instid0(VALU_DEP_4) | instskip(SKIP_1) | instid1(VALU_DEP_2)
	s_and_b32 vcc_lo, s5, vcc_lo
	v_dual_mov_b32 v21, v13 :: v_dual_cndmask_b32 v6, v11, v6
	v_cndmask_b32_e64 v7, v12, v7, s5
; %bb.23:                               ;   in Loop: Header=BB5_4 Depth=1
	s_or_b32 exec_lo, exec_lo, s7
	v_dual_mov_b32 v10, v20 :: v_dual_mov_b32 v9, v19
	s_delay_alu instid0(VALU_DEP_2)
	v_dual_mov_b32 v12, v7 :: v_dual_mov_b32 v11, v6
	v_dual_mov_b32 v13, v21 :: v_dual_mov_b32 v14, v22
.LBB5_24:                               ;   in Loop: Header=BB5_4 Depth=1
	s_or_b32 exec_lo, exec_lo, s6
	s_waitcnt lgkmcnt(1)
	ds_bpermute_b32 v19, v29, v11
	s_waitcnt lgkmcnt(1)
	ds_bpermute_b32 v20, v29, v12
	ds_bpermute_b32 v6, v29, v9
	;; [unrolled: 1-line block ×3, first 2 shown]
	s_mov_b32 s19, exec_lo
	s_waitcnt lgkmcnt(2)
	v_cmpx_ne_u64_e32 0, v[19:20]
	s_cbranch_execz .LBB5_26
; %bb.25:                               ;   in Loop: Header=BB5_4 Depth=1
	s_waitcnt lgkmcnt(0)
	v_cmp_eq_f64_e32 vcc_lo, v[13:14], v[6:7]
	v_cmp_lt_f64_e64 s5, v[13:14], v[6:7]
	v_cmp_lt_i64_e64 s6, v[19:20], v[11:12]
	v_cmp_eq_u64_e64 s7, 0, v[11:12]
	s_delay_alu instid0(VALU_DEP_2) | instskip(NEXT) | instid1(VALU_DEP_1)
	s_and_b32 vcc_lo, vcc_lo, s6
	s_or_b32 s5, s7, s5
	v_cndmask_b32_e32 v8, v12, v20, vcc_lo
	s_or_b32 vcc_lo, s5, vcc_lo
	v_cndmask_b32_e64 v14, v14, v7, s5
	v_cndmask_b32_e32 v11, v11, v19, vcc_lo
	v_cndmask_b32_e64 v13, v13, v6, s5
	v_cndmask_b32_e64 v12, v8, v20, s5
.LBB5_26:                               ;   in Loop: Header=BB5_4 Depth=1
	s_or_b32 exec_lo, exec_lo, s19
	s_and_saveexec_b32 s5, s4
	s_cbranch_execz .LBB5_28
; %bb.27:                               ;   in Loop: Header=BB5_4 Depth=1
	ds_store_b128 v30, v[11:14]
.LBB5_28:                               ;   in Loop: Header=BB5_4 Depth=1
	s_or_b32 exec_lo, exec_lo, s5
	s_waitcnt lgkmcnt(0)
	v_mov_b32_e32 v7, 0
	v_dual_mov_b32 v8, 0 :: v_dual_mov_b32 v9, 0
	v_mov_b32_e32 v10, 0
	s_barrier
	buffer_gl0_inv
	s_and_saveexec_b32 s5, s3
	s_cbranch_execz .LBB5_30
; %bb.29:                               ;   in Loop: Header=BB5_4 Depth=1
	ds_load_b128 v[7:10], v24
.LBB5_30:                               ;   in Loop: Header=BB5_4 Depth=1
	s_or_b32 exec_lo, exec_lo, s5
	s_and_saveexec_b32 s19, s3
	s_cbranch_execz .LBB5_50
; %bb.31:                               ;   in Loop: Header=BB5_4 Depth=1
	s_waitcnt lgkmcnt(0)
	ds_bpermute_b32 v13, v25, v7
	ds_bpermute_b32 v14, v25, v8
	;; [unrolled: 1-line block ×4, first 2 shown]
	v_dual_mov_b32 v12, v10 :: v_dual_mov_b32 v11, v9
	s_mov_b32 s6, exec_lo
	s_waitcnt lgkmcnt(2)
	v_cmpx_ne_u64_e32 0, v[13:14]
	s_cbranch_execz .LBB5_35
; %bb.32:                               ;   in Loop: Header=BB5_4 Depth=1
	s_waitcnt lgkmcnt(0)
	v_cmp_nlt_f64_e32 vcc_lo, v[9:10], v[19:20]
	v_cmp_ne_u64_e64 s5, 0, v[7:8]
	v_dual_mov_b32 v11, v19 :: v_dual_mov_b32 v12, v20
	s_delay_alu instid0(VALU_DEP_2) | instskip(NEXT) | instid1(SALU_CYCLE_1)
	s_and_b32 s5, s5, vcc_lo
	s_and_saveexec_b32 s7, s5
; %bb.33:                               ;   in Loop: Header=BB5_4 Depth=1
	v_cmp_eq_f64_e64 s5, v[9:10], v[19:20]
	v_cmp_lt_i64_e32 vcc_lo, v[13:14], v[7:8]
	v_dual_mov_b32 v12, v10 :: v_dual_mov_b32 v19, v9
	v_dual_mov_b32 v11, v9 :: v_dual_mov_b32 v20, v10
	v_cndmask_b32_e32 v6, v8, v14, vcc_lo
	s_and_b32 vcc_lo, s5, vcc_lo
	s_delay_alu instid0(VALU_DEP_1)
	v_cndmask_b32_e64 v14, v8, v6, s5
	v_cndmask_b32_e32 v13, v7, v13, vcc_lo
; %bb.34:                               ;   in Loop: Header=BB5_4 Depth=1
	s_or_b32 exec_lo, exec_lo, s7
	v_dual_mov_b32 v10, v20 :: v_dual_mov_b32 v9, v19
	s_delay_alu instid0(VALU_DEP_2)
	v_dual_mov_b32 v7, v13 :: v_dual_mov_b32 v8, v14
.LBB5_35:                               ;   in Loop: Header=BB5_4 Depth=1
	s_or_b32 exec_lo, exec_lo, s6
	ds_bpermute_b32 v13, v26, v7
	ds_bpermute_b32 v14, v26, v8
	s_waitcnt lgkmcnt(3)
	ds_bpermute_b32 v19, v26, v9
	s_waitcnt lgkmcnt(3)
	ds_bpermute_b32 v20, v26, v10
	s_mov_b32 s6, exec_lo
	s_waitcnt lgkmcnt(2)
	v_cmpx_ne_u64_e32 0, v[13:14]
	s_cbranch_execz .LBB5_39
; %bb.36:                               ;   in Loop: Header=BB5_4 Depth=1
	s_waitcnt lgkmcnt(0)
	v_cmp_nlt_f64_e32 vcc_lo, v[11:12], v[19:20]
	v_cmp_ne_u64_e64 s5, 0, v[7:8]
	v_dual_mov_b32 v22, v20 :: v_dual_mov_b32 v21, v19
	s_delay_alu instid0(VALU_DEP_2) | instskip(NEXT) | instid1(SALU_CYCLE_1)
	s_and_b32 s5, s5, vcc_lo
	s_and_saveexec_b32 s7, s5
; %bb.37:                               ;   in Loop: Header=BB5_4 Depth=1
	v_cmp_eq_f64_e64 s5, v[11:12], v[19:20]
	v_cmp_lt_i64_e32 vcc_lo, v[13:14], v[7:8]
	v_dual_mov_b32 v22, v12 :: v_dual_mov_b32 v19, v9
	v_dual_mov_b32 v21, v11 :: v_dual_mov_b32 v20, v10
	v_cndmask_b32_e32 v6, v8, v14, vcc_lo
	s_and_b32 vcc_lo, s5, vcc_lo
	s_delay_alu instid0(VALU_DEP_1)
	v_cndmask_b32_e64 v14, v8, v6, s5
	v_cndmask_b32_e32 v13, v7, v13, vcc_lo
; %bb.38:                               ;   in Loop: Header=BB5_4 Depth=1
	s_or_b32 exec_lo, exec_lo, s7
	v_dual_mov_b32 v10, v20 :: v_dual_mov_b32 v9, v19
	s_delay_alu instid0(VALU_DEP_2)
	v_dual_mov_b32 v7, v13 :: v_dual_mov_b32 v8, v14
	v_dual_mov_b32 v11, v21 :: v_dual_mov_b32 v12, v22
.LBB5_39:                               ;   in Loop: Header=BB5_4 Depth=1
	s_or_b32 exec_lo, exec_lo, s6
	ds_bpermute_b32 v13, v27, v7
	ds_bpermute_b32 v14, v27, v8
	s_waitcnt lgkmcnt(3)
	ds_bpermute_b32 v19, v27, v9
	s_waitcnt lgkmcnt(3)
	ds_bpermute_b32 v20, v27, v10
	s_mov_b32 s6, exec_lo
	s_waitcnt lgkmcnt(2)
	v_cmpx_ne_u64_e32 0, v[13:14]
	s_cbranch_execz .LBB5_43
; %bb.40:                               ;   in Loop: Header=BB5_4 Depth=1
	s_waitcnt lgkmcnt(0)
	v_cmp_nlt_f64_e32 vcc_lo, v[11:12], v[19:20]
	v_cmp_ne_u64_e64 s5, 0, v[7:8]
	v_dual_mov_b32 v22, v20 :: v_dual_mov_b32 v21, v19
	s_delay_alu instid0(VALU_DEP_2) | instskip(NEXT) | instid1(SALU_CYCLE_1)
	s_and_b32 s5, s5, vcc_lo
	s_and_saveexec_b32 s7, s5
; %bb.41:                               ;   in Loop: Header=BB5_4 Depth=1
	v_cmp_eq_f64_e64 s5, v[11:12], v[19:20]
	v_cmp_lt_i64_e32 vcc_lo, v[13:14], v[7:8]
	v_dual_mov_b32 v22, v12 :: v_dual_mov_b32 v19, v9
	v_dual_mov_b32 v21, v11 :: v_dual_mov_b32 v20, v10
	v_cndmask_b32_e32 v6, v8, v14, vcc_lo
	s_and_b32 vcc_lo, s5, vcc_lo
	s_delay_alu instid0(VALU_DEP_1)
	v_cndmask_b32_e64 v14, v8, v6, s5
	v_cndmask_b32_e32 v13, v7, v13, vcc_lo
; %bb.42:                               ;   in Loop: Header=BB5_4 Depth=1
	s_or_b32 exec_lo, exec_lo, s7
	v_dual_mov_b32 v10, v20 :: v_dual_mov_b32 v9, v19
	s_delay_alu instid0(VALU_DEP_2)
	v_dual_mov_b32 v7, v13 :: v_dual_mov_b32 v8, v14
	v_dual_mov_b32 v11, v21 :: v_dual_mov_b32 v12, v22
.LBB5_43:                               ;   in Loop: Header=BB5_4 Depth=1
	;; [unrolled: 36-line block ×3, first 2 shown]
	s_or_b32 exec_lo, exec_lo, s6
	ds_bpermute_b32 v13, v29, v7
	ds_bpermute_b32 v14, v29, v8
	;; [unrolled: 1-line block ×4, first 2 shown]
	s_mov_b32 s20, exec_lo
	s_waitcnt lgkmcnt(2)
	v_cmpx_ne_u64_e32 0, v[13:14]
	s_cbranch_execz .LBB5_49
; %bb.48:                               ;   in Loop: Header=BB5_4 Depth=1
	s_waitcnt lgkmcnt(0)
	v_cmp_eq_f64_e32 vcc_lo, v[11:12], v[9:10]
	v_cmp_lt_f64_e64 s5, v[11:12], v[9:10]
	v_cmp_lt_i64_e64 s6, v[13:14], v[7:8]
	v_cmp_eq_u64_e64 s7, 0, v[7:8]
	s_delay_alu instid0(VALU_DEP_2) | instskip(NEXT) | instid1(VALU_DEP_1)
	s_and_b32 vcc_lo, vcc_lo, s6
	s_or_b32 s5, s7, s5
	v_cndmask_b32_e32 v6, v8, v14, vcc_lo
	s_or_b32 vcc_lo, s5, vcc_lo
	v_cndmask_b32_e64 v12, v12, v10, s5
	v_cndmask_b32_e32 v7, v7, v13, vcc_lo
	v_cndmask_b32_e64 v11, v11, v9, s5
	v_cndmask_b32_e64 v8, v6, v14, s5
.LBB5_49:                               ;   in Loop: Header=BB5_4 Depth=1
	s_or_b32 exec_lo, exec_lo, s20
	s_waitcnt lgkmcnt(0)
	s_delay_alu instid0(VALU_DEP_2)
	v_dual_mov_b32 v9, v11 :: v_dual_mov_b32 v10, v12
.LBB5_50:                               ;   in Loop: Header=BB5_4 Depth=1
	s_or_b32 exec_lo, exec_lo, s19
	s_waitcnt lgkmcnt(0)
	v_cmp_ne_u64_e32 vcc_lo, 0, v[7:8]
	s_and_b32 s5, s18, vcc_lo
	s_delay_alu instid0(SALU_CYCLE_1)
	s_and_saveexec_b32 s6, s5
	s_cbranch_execz .LBB5_3
; %bb.51:                               ;   in Loop: Header=BB5_4 Depth=1
	v_cmp_ngt_f64_e32 vcc_lo, v[9:10], v[3:4]
	v_cmp_ne_u64_e64 s5, 0, v[1:2]
	v_dual_mov_b32 v12, v10 :: v_dual_mov_b32 v11, v9
	s_delay_alu instid0(VALU_DEP_2) | instskip(NEXT) | instid1(SALU_CYCLE_1)
	s_and_b32 s5, s5, vcc_lo
	s_and_saveexec_b32 s7, s5
	s_cbranch_execz .LBB5_2
; %bb.52:                               ;   in Loop: Header=BB5_4 Depth=1
	v_cmp_eq_f64_e64 s5, v[3:4], v[9:10]
	v_cmp_lt_i64_e32 vcc_lo, v[7:8], v[1:2]
	v_dual_mov_b32 v12, v4 :: v_dual_mov_b32 v11, v3
	v_cndmask_b32_e32 v6, v2, v8, vcc_lo
	s_delay_alu instid0(VALU_DEP_4) | instskip(SKIP_1) | instid1(VALU_DEP_2)
	s_and_b32 vcc_lo, s5, vcc_lo
	v_cndmask_b32_e32 v7, v1, v7, vcc_lo
	v_cndmask_b32_e64 v8, v2, v6, s5
	s_branch .LBB5_2
.LBB5_53:
	v_mov_b32_e32 v1, 0
	v_mov_b32_e32 v2, 0
.LBB5_54:
	s_mov_b32 s15, 0
	s_mov_b32 s3, exec_lo
	v_cmpx_eq_u32_e32 0, v0
	s_cbranch_execz .LBB5_56
; %bb.55:
	s_load_b32 s0, s[0:1], 0x30
	v_mov_b32_e32 v0, 0
	s_waitcnt lgkmcnt(0)
	s_mul_hi_u32 s1, s0, s2
	s_mul_i32 s0, s0, s2
	s_delay_alu instid0(SALU_CYCLE_1) | instskip(NEXT) | instid1(SALU_CYCLE_1)
	s_lshl_b64 s[0:1], s[0:1], 4
	s_add_u32 s2, s10, s0
	s_addc_u32 s3, s11, s1
	s_lshl_b64 s[0:1], s[14:15], 4
	s_delay_alu instid0(SALU_CYCLE_1)
	s_add_u32 s0, s2, s0
	s_addc_u32 s1, s3, s1
	global_store_b128 v0, v[1:4], s[0:1]
.LBB5_56:
	s_nop 0
	s_sendmsg sendmsg(MSG_DEALLOC_VGPRS)
	s_endpgm
	.section	.rodata,"a",@progbits
	.p2align	6, 0x0
	.amdhsa_kernel _ZL35rocblas_iamax_iamin_kernel_part1_64ILi1024E26rocblas_fetch_amax_amin_64IdE22rocblas_reduce_amax_64PK19rocblas_complex_numIdE24rocblas_index_64_value_tIdEEvlT2_lllPT3_
		.amdhsa_group_segment_fixed_size 512
		.amdhsa_private_segment_fixed_size 0
		.amdhsa_kernarg_size 304
		.amdhsa_user_sgpr_count 14
		.amdhsa_user_sgpr_dispatch_ptr 0
		.amdhsa_user_sgpr_queue_ptr 0
		.amdhsa_user_sgpr_kernarg_segment_ptr 1
		.amdhsa_user_sgpr_dispatch_id 0
		.amdhsa_user_sgpr_private_segment_size 0
		.amdhsa_wavefront_size32 1
		.amdhsa_uses_dynamic_stack 0
		.amdhsa_enable_private_segment 0
		.amdhsa_system_sgpr_workgroup_id_x 1
		.amdhsa_system_sgpr_workgroup_id_y 0
		.amdhsa_system_sgpr_workgroup_id_z 1
		.amdhsa_system_sgpr_workgroup_info 0
		.amdhsa_system_vgpr_workitem_id 0
		.amdhsa_next_free_vgpr 31
		.amdhsa_next_free_sgpr 24
		.amdhsa_reserve_vcc 1
		.amdhsa_float_round_mode_32 0
		.amdhsa_float_round_mode_16_64 0
		.amdhsa_float_denorm_mode_32 3
		.amdhsa_float_denorm_mode_16_64 3
		.amdhsa_dx10_clamp 1
		.amdhsa_ieee_mode 1
		.amdhsa_fp16_overflow 0
		.amdhsa_workgroup_processor_mode 1
		.amdhsa_memory_ordered 1
		.amdhsa_forward_progress 0
		.amdhsa_shared_vgpr_count 0
		.amdhsa_exception_fp_ieee_invalid_op 0
		.amdhsa_exception_fp_denorm_src 0
		.amdhsa_exception_fp_ieee_div_zero 0
		.amdhsa_exception_fp_ieee_overflow 0
		.amdhsa_exception_fp_ieee_underflow 0
		.amdhsa_exception_fp_ieee_inexact 0
		.amdhsa_exception_int_div_zero 0
	.end_amdhsa_kernel
	.section	.text._ZL35rocblas_iamax_iamin_kernel_part1_64ILi1024E26rocblas_fetch_amax_amin_64IdE22rocblas_reduce_amax_64PK19rocblas_complex_numIdE24rocblas_index_64_value_tIdEEvlT2_lllPT3_,"axG",@progbits,_ZL35rocblas_iamax_iamin_kernel_part1_64ILi1024E26rocblas_fetch_amax_amin_64IdE22rocblas_reduce_amax_64PK19rocblas_complex_numIdE24rocblas_index_64_value_tIdEEvlT2_lllPT3_,comdat
.Lfunc_end5:
	.size	_ZL35rocblas_iamax_iamin_kernel_part1_64ILi1024E26rocblas_fetch_amax_amin_64IdE22rocblas_reduce_amax_64PK19rocblas_complex_numIdE24rocblas_index_64_value_tIdEEvlT2_lllPT3_, .Lfunc_end5-_ZL35rocblas_iamax_iamin_kernel_part1_64ILi1024E26rocblas_fetch_amax_amin_64IdE22rocblas_reduce_amax_64PK19rocblas_complex_numIdE24rocblas_index_64_value_tIdEEvlT2_lllPT3_
                                        ; -- End function
	.section	.AMDGPU.csdata,"",@progbits
; Kernel info:
; codeLenInByte = 2632
; NumSgprs: 26
; NumVgprs: 31
; ScratchSize: 0
; MemoryBound: 0
; FloatMode: 240
; IeeeMode: 1
; LDSByteSize: 512 bytes/workgroup (compile time only)
; SGPRBlocks: 3
; VGPRBlocks: 3
; NumSGPRsForWavesPerEU: 26
; NumVGPRsForWavesPerEU: 31
; Occupancy: 16
; WaveLimiterHint : 0
; COMPUTE_PGM_RSRC2:SCRATCH_EN: 0
; COMPUTE_PGM_RSRC2:USER_SGPR: 14
; COMPUTE_PGM_RSRC2:TRAP_HANDLER: 0
; COMPUTE_PGM_RSRC2:TGID_X_EN: 1
; COMPUTE_PGM_RSRC2:TGID_Y_EN: 0
; COMPUTE_PGM_RSRC2:TGID_Z_EN: 1
; COMPUTE_PGM_RSRC2:TIDIG_COMP_CNT: 0
	.section	.text._ZL35rocblas_iamax_iamin_kernel_part1_64ILi1024E26rocblas_fetch_amax_amin_64IfE22rocblas_reduce_amax_64PKPKf24rocblas_index_64_value_tIfEEvlT2_lllPT3_,"axG",@progbits,_ZL35rocblas_iamax_iamin_kernel_part1_64ILi1024E26rocblas_fetch_amax_amin_64IfE22rocblas_reduce_amax_64PKPKf24rocblas_index_64_value_tIfEEvlT2_lllPT3_,comdat
	.globl	_ZL35rocblas_iamax_iamin_kernel_part1_64ILi1024E26rocblas_fetch_amax_amin_64IfE22rocblas_reduce_amax_64PKPKf24rocblas_index_64_value_tIfEEvlT2_lllPT3_ ; -- Begin function _ZL35rocblas_iamax_iamin_kernel_part1_64ILi1024E26rocblas_fetch_amax_amin_64IfE22rocblas_reduce_amax_64PKPKf24rocblas_index_64_value_tIfEEvlT2_lllPT3_
	.p2align	8
	.type	_ZL35rocblas_iamax_iamin_kernel_part1_64ILi1024E26rocblas_fetch_amax_amin_64IfE22rocblas_reduce_amax_64PKPKf24rocblas_index_64_value_tIfEEvlT2_lllPT3_,@function
_ZL35rocblas_iamax_iamin_kernel_part1_64ILi1024E26rocblas_fetch_amax_amin_64IfE22rocblas_reduce_amax_64PKPKf24rocblas_index_64_value_tIfEEvlT2_lllPT3_: ; @_ZL35rocblas_iamax_iamin_kernel_part1_64ILi1024E26rocblas_fetch_amax_amin_64IfE22rocblas_reduce_amax_64PKPKf24rocblas_index_64_value_tIfEEvlT2_lllPT3_
; %bb.0:
	s_load_b256 s[16:23], s[0:1], 0x0
	s_mov_b32 s8, s15
	s_mov_b32 s9, 0
	s_waitcnt lgkmcnt(0)
	v_cmp_lt_i64_e64 s2, s[16:17], 1
	s_delay_alu instid0(VALU_DEP_1)
	s_and_b32 vcc_lo, exec_lo, s2
	s_cbranch_vccnz .LBB6_53
; %bb.1:
	v_mbcnt_lo_u32_b32 v5, -1, 0
	v_lshl_or_b32 v15, s14, 10, v0
	s_lshl_b64 s[2:3], s[8:9], 3
	s_load_b32 s6, s[0:1], 0x30
	s_add_u32 s4, s18, s2
	v_cmp_gt_u32_e32 vcc_lo, 16, v5
	s_addc_u32 s5, s19, s3
	v_and_b32_e32 v6, 31, v0
	s_load_b64 s[4:5], s[4:5], 0x0
	s_lshl_b64 s[10:11], s[20:21], 2
	v_cndmask_b32_e64 v1, 0, 1, vcc_lo
	v_cmp_gt_u32_e32 vcc_lo, 24, v5
	v_lshlrev_b32_e32 v14, 4, v6
	v_cmp_eq_u32_e64 s3, 0, v6
	v_cmp_gt_u32_e64 s2, 32, v0
	v_lshlrev_b32_e32 v3, 4, v1
	v_mad_u64_u32 v[1:2], null, s22, v15, 0
	v_cndmask_b32_e64 v4, 0, 1, vcc_lo
	v_cmp_gt_u32_e32 vcc_lo, 28, v5
	s_delay_alu instid0(VALU_DEP_4) | instskip(SKIP_1) | instid1(VALU_DEP_3)
	v_add_lshl_u32 v16, v3, v5, 2
	s_mov_b64 s[12:13], 0
                                        ; implicit-def: $vgpr22
	v_lshlrev_b32_e32 v9, 3, v4
	v_mad_u64_u32 v[3:4], null, s23, v15, v[2:3]
	v_cndmask_b32_e64 v7, 0, 1, vcc_lo
	v_lshrrev_b32_e32 v2, 1, v0
	v_cmp_gt_u32_e32 vcc_lo, 30, v5
	s_waitcnt lgkmcnt(0)
	s_lshl_b32 s7, s6, 10
	s_add_u32 s4, s4, s10
	v_lshlrev_b32_e32 v7, 2, v7
	v_dual_mov_b32 v2, v3 :: v_dual_and_b32 v21, 0x1f0, v2
	v_cndmask_b32_e64 v8, 0, 1, vcc_lo
	v_cmp_ne_u32_e32 vcc_lo, 31, v5
	s_delay_alu instid0(VALU_DEP_4)
	v_add_lshl_u32 v18, v7, v5, 2
	v_mov_b32_e32 v6, 0
	v_lshlrev_b64 v[1:2], 2, v[1:2]
	v_dual_mov_b32 v7, 0 :: v_dual_lshlrev_b32 v8, 1, v8
	v_add_co_ci_u32_e32 v10, vcc_lo, 0, v5, vcc_lo
	s_addc_u32 s5, s5, s11
	v_cmp_ne_u32_e32 vcc_lo, 0, v0
	s_delay_alu instid0(VALU_DEP_3)
	v_add_lshl_u32 v19, v8, v5, 2
	v_add_co_u32 v8, s4, s4, v1
	v_add_lshl_u32 v17, v9, v5, 2
	s_mul_i32 s6, s23, s7
	s_mul_hi_u32 s9, s22, s7
	v_add_co_ci_u32_e64 v9, s4, s5, v2, s4
	v_dual_mov_b32 v1, v6 :: v_dual_lshlrev_b32 v20, 2, v10
	v_mov_b32_e32 v4, 0
	v_mov_b32_e32 v2, v7
	s_add_i32 s5, s9, s6
	s_mul_i32 s4, s22, s7
	s_xor_b32 s9, vcc_lo, -1
	s_lshl_b64 s[10:11], s[4:5], 2
	s_branch .LBB6_4
.LBB6_2:                                ;   in Loop: Header=BB6_4 Depth=1
	s_or_b32 exec_lo, exec_lo, s6
	s_delay_alu instid0(VALU_DEP_2) | instskip(NEXT) | instid1(VALU_DEP_2)
	v_dual_mov_b32 v1, v10 :: v_dual_mov_b32 v2, v11
	v_mov_b32_e32 v3, v5
.LBB6_3:                                ;   in Loop: Header=BB6_4 Depth=1
	s_or_b32 exec_lo, exec_lo, s5
	s_add_u32 s12, s12, s7
	s_addc_u32 s13, s13, 0
	v_add_co_u32 v8, vcc_lo, v8, s10
	v_cmp_ge_i64_e64 s4, s[12:13], s[16:17]
	v_add_co_ci_u32_e32 v9, vcc_lo, s11, v9, vcc_lo
	s_delay_alu instid0(VALU_DEP_2)
	s_and_b32 vcc_lo, exec_lo, s4
	s_cbranch_vccnz .LBB6_54
.LBB6_4:                                ; =>This Inner Loop Header: Depth=1
	v_add_co_u32 v12, s4, v15, s12
	s_delay_alu instid0(VALU_DEP_1) | instskip(SKIP_2) | instid1(VALU_DEP_2)
	v_add_co_ci_u32_e64 v13, null, 0, s13, s4
	v_dual_mov_b32 v11, v7 :: v_dual_mov_b32 v10, v6
	s_mov_b32 s4, exec_lo
	v_cmpx_gt_i64_e64 s[16:17], v[12:13]
	s_cbranch_execz .LBB6_6
; %bb.5:                                ;   in Loop: Header=BB6_4 Depth=1
	global_load_b32 v5, v[8:9], off
	v_add_co_u32 v10, vcc_lo, v12, 1
	v_add_co_ci_u32_e32 v11, vcc_lo, 0, v13, vcc_lo
	s_waitcnt vmcnt(0)
	v_cmp_gt_f32_e32 vcc_lo, 0, v5
	s_waitcnt lgkmcnt(0)
	v_cndmask_b32_e64 v22, v5, -v5, vcc_lo
.LBB6_6:                                ;   in Loop: Header=BB6_4 Depth=1
	s_or_b32 exec_lo, exec_lo, s4
	s_and_saveexec_b32 s4, s2
	s_cbranch_execz .LBB6_8
; %bb.7:                                ;   in Loop: Header=BB6_4 Depth=1
	v_mov_b32_e32 v5, v4
	ds_store_b64 v14, v[4:5]
	ds_store_b32 v14, v4 offset:8
.LBB6_8:                                ;   in Loop: Header=BB6_4 Depth=1
	s_or_b32 exec_lo, exec_lo, s4
	ds_bpermute_b32 v12, v16, v10
	ds_bpermute_b32 v13, v16, v11
	s_waitcnt lgkmcnt(2)
	ds_bpermute_b32 v23, v16, v22
	v_mov_b32_e32 v5, v22
	s_mov_b32 s5, exec_lo
	s_waitcnt lgkmcnt(0)
	s_barrier
	buffer_gl0_inv
	v_cmpx_ne_u64_e32 0, v[12:13]
	s_cbranch_execz .LBB6_12
; %bb.9:                                ;   in Loop: Header=BB6_4 Depth=1
	v_cmp_ne_u64_e32 vcc_lo, 0, v[10:11]
	v_cmp_nlt_f32_e64 s4, v22, v23
	s_delay_alu instid0(VALU_DEP_1) | instskip(NEXT) | instid1(SALU_CYCLE_1)
	s_and_b32 s4, vcc_lo, s4
	s_and_saveexec_b32 s6, s4
; %bb.10:                               ;   in Loop: Header=BB6_4 Depth=1
	v_cmp_lt_i64_e32 vcc_lo, v[12:13], v[10:11]
	v_cmp_eq_f32_e64 s4, v22, v23
	v_mov_b32_e32 v23, v22
	v_cndmask_b32_e32 v5, v11, v13, vcc_lo
	s_delay_alu instid0(VALU_DEP_3) | instskip(SKIP_1) | instid1(VALU_DEP_2)
	s_and_b32 vcc_lo, s4, vcc_lo
	v_cndmask_b32_e32 v12, v10, v12, vcc_lo
	v_cndmask_b32_e64 v13, v11, v5, s4
; %bb.11:                               ;   in Loop: Header=BB6_4 Depth=1
	s_or_b32 exec_lo, exec_lo, s6
	s_delay_alu instid0(VALU_DEP_2) | instskip(NEXT) | instid1(VALU_DEP_2)
	v_dual_mov_b32 v10, v12 :: v_dual_mov_b32 v5, v23
	v_dual_mov_b32 v22, v23 :: v_dual_mov_b32 v11, v13
.LBB6_12:                               ;   in Loop: Header=BB6_4 Depth=1
	s_or_b32 exec_lo, exec_lo, s5
	ds_bpermute_b32 v12, v17, v10
	ds_bpermute_b32 v13, v17, v11
	;; [unrolled: 1-line block ×3, first 2 shown]
	s_mov_b32 s5, exec_lo
	s_waitcnt lgkmcnt(1)
	v_cmpx_ne_u64_e32 0, v[12:13]
	s_cbranch_execz .LBB6_16
; %bb.13:                               ;   in Loop: Header=BB6_4 Depth=1
	v_cmp_ne_u64_e32 vcc_lo, 0, v[10:11]
	s_waitcnt lgkmcnt(0)
	v_cmp_nlt_f32_e64 s4, v5, v23
	v_mov_b32_e32 v24, v23
	s_delay_alu instid0(VALU_DEP_2) | instskip(NEXT) | instid1(SALU_CYCLE_1)
	s_and_b32 s4, vcc_lo, s4
	s_and_saveexec_b32 s6, s4
; %bb.14:                               ;   in Loop: Header=BB6_4 Depth=1
	v_cmp_lt_i64_e32 vcc_lo, v[12:13], v[10:11]
	v_cmp_eq_f32_e64 s4, v5, v23
	v_dual_mov_b32 v23, v22 :: v_dual_mov_b32 v24, v5
	v_cndmask_b32_e32 v13, v11, v13, vcc_lo
	s_delay_alu instid0(VALU_DEP_3) | instskip(SKIP_1) | instid1(VALU_DEP_2)
	s_and_b32 vcc_lo, s4, vcc_lo
	v_cndmask_b32_e32 v12, v10, v12, vcc_lo
	v_cndmask_b32_e64 v13, v11, v13, s4
; %bb.15:                               ;   in Loop: Header=BB6_4 Depth=1
	s_or_b32 exec_lo, exec_lo, s6
	s_delay_alu instid0(VALU_DEP_2) | instskip(NEXT) | instid1(VALU_DEP_2)
	v_mov_b32_e32 v10, v12
	v_dual_mov_b32 v22, v23 :: v_dual_mov_b32 v11, v13
	v_mov_b32_e32 v5, v24
.LBB6_16:                               ;   in Loop: Header=BB6_4 Depth=1
	s_or_b32 exec_lo, exec_lo, s5
	ds_bpermute_b32 v12, v18, v10
	ds_bpermute_b32 v13, v18, v11
	s_waitcnt lgkmcnt(2)
	ds_bpermute_b32 v23, v18, v22
	s_mov_b32 s5, exec_lo
	s_waitcnt lgkmcnt(1)
	v_cmpx_ne_u64_e32 0, v[12:13]
	s_cbranch_execz .LBB6_20
; %bb.17:                               ;   in Loop: Header=BB6_4 Depth=1
	v_cmp_ne_u64_e32 vcc_lo, 0, v[10:11]
	s_waitcnt lgkmcnt(0)
	v_cmp_nlt_f32_e64 s4, v5, v23
	v_mov_b32_e32 v24, v23
	s_delay_alu instid0(VALU_DEP_2) | instskip(NEXT) | instid1(SALU_CYCLE_1)
	s_and_b32 s4, vcc_lo, s4
	s_and_saveexec_b32 s6, s4
; %bb.18:                               ;   in Loop: Header=BB6_4 Depth=1
	v_cmp_lt_i64_e32 vcc_lo, v[12:13], v[10:11]
	v_cmp_eq_f32_e64 s4, v5, v23
	v_dual_mov_b32 v23, v22 :: v_dual_mov_b32 v24, v5
	v_cndmask_b32_e32 v13, v11, v13, vcc_lo
	s_delay_alu instid0(VALU_DEP_3) | instskip(SKIP_1) | instid1(VALU_DEP_2)
	s_and_b32 vcc_lo, s4, vcc_lo
	v_cndmask_b32_e32 v12, v10, v12, vcc_lo
	v_cndmask_b32_e64 v13, v11, v13, s4
; %bb.19:                               ;   in Loop: Header=BB6_4 Depth=1
	s_or_b32 exec_lo, exec_lo, s6
	s_delay_alu instid0(VALU_DEP_2) | instskip(NEXT) | instid1(VALU_DEP_2)
	v_mov_b32_e32 v10, v12
	v_dual_mov_b32 v22, v23 :: v_dual_mov_b32 v11, v13
	v_mov_b32_e32 v5, v24
.LBB6_20:                               ;   in Loop: Header=BB6_4 Depth=1
	s_or_b32 exec_lo, exec_lo, s5
	ds_bpermute_b32 v12, v19, v10
	ds_bpermute_b32 v13, v19, v11
	s_waitcnt lgkmcnt(2)
	ds_bpermute_b32 v23, v19, v22
	s_mov_b32 s5, exec_lo
	s_waitcnt lgkmcnt(1)
	v_cmpx_ne_u64_e32 0, v[12:13]
	s_cbranch_execz .LBB6_24
; %bb.21:                               ;   in Loop: Header=BB6_4 Depth=1
	v_cmp_ne_u64_e32 vcc_lo, 0, v[10:11]
	s_waitcnt lgkmcnt(0)
	v_cmp_nlt_f32_e64 s4, v5, v23
	v_mov_b32_e32 v24, v23
	s_delay_alu instid0(VALU_DEP_2) | instskip(NEXT) | instid1(SALU_CYCLE_1)
	s_and_b32 s4, vcc_lo, s4
	s_and_saveexec_b32 s6, s4
; %bb.22:                               ;   in Loop: Header=BB6_4 Depth=1
	v_cmp_lt_i64_e32 vcc_lo, v[12:13], v[10:11]
	v_cmp_eq_f32_e64 s4, v5, v23
	v_dual_mov_b32 v23, v22 :: v_dual_mov_b32 v24, v5
	v_cndmask_b32_e32 v13, v11, v13, vcc_lo
	s_delay_alu instid0(VALU_DEP_3) | instskip(SKIP_1) | instid1(VALU_DEP_2)
	s_and_b32 vcc_lo, s4, vcc_lo
	v_cndmask_b32_e32 v12, v10, v12, vcc_lo
	v_cndmask_b32_e64 v13, v11, v13, s4
; %bb.23:                               ;   in Loop: Header=BB6_4 Depth=1
	s_or_b32 exec_lo, exec_lo, s6
	s_delay_alu instid0(VALU_DEP_2) | instskip(NEXT) | instid1(VALU_DEP_2)
	v_mov_b32_e32 v10, v12
	v_dual_mov_b32 v22, v23 :: v_dual_mov_b32 v11, v13
	v_mov_b32_e32 v5, v24
.LBB6_24:                               ;   in Loop: Header=BB6_4 Depth=1
	s_or_b32 exec_lo, exec_lo, s5
	ds_bpermute_b32 v12, v20, v10
	ds_bpermute_b32 v13, v20, v11
	;; [unrolled: 1-line block ×3, first 2 shown]
	s_mov_b32 s15, exec_lo
	s_waitcnt lgkmcnt(1)
	v_cmpx_ne_u64_e32 0, v[12:13]
	s_cbranch_execz .LBB6_26
; %bb.25:                               ;   in Loop: Header=BB6_4 Depth=1
	v_cmp_lt_i64_e32 vcc_lo, v[12:13], v[10:11]
	s_waitcnt lgkmcnt(0)
	v_cmp_eq_f32_e64 s4, v5, v22
	v_cmp_eq_u64_e64 s5, 0, v[10:11]
	v_cmp_lt_f32_e64 s6, v5, v22
	s_delay_alu instid0(VALU_DEP_3) | instskip(NEXT) | instid1(VALU_DEP_1)
	s_and_b32 vcc_lo, s4, vcc_lo
	s_or_b32 s4, s5, s6
	v_cndmask_b32_e32 v11, v11, v13, vcc_lo
	s_or_b32 vcc_lo, s4, vcc_lo
	v_cndmask_b32_e64 v5, v5, v22, s4
	v_cndmask_b32_e32 v10, v10, v12, vcc_lo
	s_delay_alu instid0(VALU_DEP_3)
	v_cndmask_b32_e64 v11, v11, v13, s4
.LBB6_26:                               ;   in Loop: Header=BB6_4 Depth=1
	s_or_b32 exec_lo, exec_lo, s15
	s_and_saveexec_b32 s4, s3
	s_cbranch_execz .LBB6_28
; %bb.27:                               ;   in Loop: Header=BB6_4 Depth=1
	ds_store_b64 v21, v[10:11]
	ds_store_b32 v21, v5 offset:8
.LBB6_28:                               ;   in Loop: Header=BB6_4 Depth=1
	s_or_b32 exec_lo, exec_lo, s4
	v_mov_b32_e32 v10, 0
	s_waitcnt lgkmcnt(0)
	v_dual_mov_b32 v11, 0 :: v_dual_mov_b32 v22, 0
	s_barrier
	buffer_gl0_inv
	s_and_saveexec_b32 s4, s2
	s_cbranch_execz .LBB6_30
; %bb.29:                               ;   in Loop: Header=BB6_4 Depth=1
	ds_load_b64 v[10:11], v14
	ds_load_b32 v22, v14 offset:8
.LBB6_30:                               ;   in Loop: Header=BB6_4 Depth=1
	s_or_b32 exec_lo, exec_lo, s4
	s_and_saveexec_b32 s15, s2
	s_cbranch_execz .LBB6_50
; %bb.31:                               ;   in Loop: Header=BB6_4 Depth=1
	s_waitcnt lgkmcnt(1)
	ds_bpermute_b32 v12, v16, v10
	ds_bpermute_b32 v13, v16, v11
	s_waitcnt lgkmcnt(2)
	ds_bpermute_b32 v23, v16, v22
	v_mov_b32_e32 v5, v22
	s_mov_b32 s5, exec_lo
	s_waitcnt lgkmcnt(1)
	v_cmpx_ne_u64_e32 0, v[12:13]
	s_cbranch_execz .LBB6_35
; %bb.32:                               ;   in Loop: Header=BB6_4 Depth=1
	v_cmp_ne_u64_e32 vcc_lo, 0, v[10:11]
	s_waitcnt lgkmcnt(0)
	v_cmp_nlt_f32_e64 s4, v22, v23
	s_delay_alu instid0(VALU_DEP_1) | instskip(NEXT) | instid1(SALU_CYCLE_1)
	s_and_b32 s4, vcc_lo, s4
	s_and_saveexec_b32 s6, s4
; %bb.33:                               ;   in Loop: Header=BB6_4 Depth=1
	v_cmp_lt_i64_e32 vcc_lo, v[12:13], v[10:11]
	v_cmp_eq_f32_e64 s4, v22, v23
	v_mov_b32_e32 v23, v22
	v_cndmask_b32_e32 v5, v11, v13, vcc_lo
	s_delay_alu instid0(VALU_DEP_3) | instskip(SKIP_1) | instid1(VALU_DEP_2)
	s_and_b32 vcc_lo, s4, vcc_lo
	v_cndmask_b32_e32 v12, v10, v12, vcc_lo
	v_cndmask_b32_e64 v13, v11, v5, s4
; %bb.34:                               ;   in Loop: Header=BB6_4 Depth=1
	s_or_b32 exec_lo, exec_lo, s6
	s_delay_alu instid0(VALU_DEP_2) | instskip(NEXT) | instid1(VALU_DEP_2)
	v_dual_mov_b32 v10, v12 :: v_dual_mov_b32 v5, v23
	v_dual_mov_b32 v22, v23 :: v_dual_mov_b32 v11, v13
.LBB6_35:                               ;   in Loop: Header=BB6_4 Depth=1
	s_or_b32 exec_lo, exec_lo, s5
	ds_bpermute_b32 v12, v17, v10
	ds_bpermute_b32 v13, v17, v11
	s_waitcnt lgkmcnt(2)
	ds_bpermute_b32 v23, v17, v22
	s_mov_b32 s5, exec_lo
	s_waitcnt lgkmcnt(1)
	v_cmpx_ne_u64_e32 0, v[12:13]
	s_cbranch_execz .LBB6_39
; %bb.36:                               ;   in Loop: Header=BB6_4 Depth=1
	v_cmp_ne_u64_e32 vcc_lo, 0, v[10:11]
	s_waitcnt lgkmcnt(0)
	v_cmp_nlt_f32_e64 s4, v5, v23
	v_mov_b32_e32 v24, v23
	s_delay_alu instid0(VALU_DEP_2) | instskip(NEXT) | instid1(SALU_CYCLE_1)
	s_and_b32 s4, vcc_lo, s4
	s_and_saveexec_b32 s6, s4
; %bb.37:                               ;   in Loop: Header=BB6_4 Depth=1
	v_cmp_lt_i64_e32 vcc_lo, v[12:13], v[10:11]
	v_cmp_eq_f32_e64 s4, v5, v23
	v_dual_mov_b32 v23, v22 :: v_dual_mov_b32 v24, v5
	v_cndmask_b32_e32 v13, v11, v13, vcc_lo
	s_delay_alu instid0(VALU_DEP_3) | instskip(SKIP_1) | instid1(VALU_DEP_2)
	s_and_b32 vcc_lo, s4, vcc_lo
	v_cndmask_b32_e32 v12, v10, v12, vcc_lo
	v_cndmask_b32_e64 v13, v11, v13, s4
; %bb.38:                               ;   in Loop: Header=BB6_4 Depth=1
	s_or_b32 exec_lo, exec_lo, s6
	s_delay_alu instid0(VALU_DEP_2) | instskip(NEXT) | instid1(VALU_DEP_2)
	v_mov_b32_e32 v10, v12
	v_dual_mov_b32 v22, v23 :: v_dual_mov_b32 v11, v13
	v_mov_b32_e32 v5, v24
.LBB6_39:                               ;   in Loop: Header=BB6_4 Depth=1
	s_or_b32 exec_lo, exec_lo, s5
	ds_bpermute_b32 v12, v18, v10
	ds_bpermute_b32 v13, v18, v11
	s_waitcnt lgkmcnt(2)
	ds_bpermute_b32 v23, v18, v22
	s_mov_b32 s5, exec_lo
	s_waitcnt lgkmcnt(1)
	v_cmpx_ne_u64_e32 0, v[12:13]
	s_cbranch_execz .LBB6_43
; %bb.40:                               ;   in Loop: Header=BB6_4 Depth=1
	v_cmp_ne_u64_e32 vcc_lo, 0, v[10:11]
	s_waitcnt lgkmcnt(0)
	v_cmp_nlt_f32_e64 s4, v5, v23
	v_mov_b32_e32 v24, v23
	s_delay_alu instid0(VALU_DEP_2) | instskip(NEXT) | instid1(SALU_CYCLE_1)
	s_and_b32 s4, vcc_lo, s4
	s_and_saveexec_b32 s6, s4
; %bb.41:                               ;   in Loop: Header=BB6_4 Depth=1
	v_cmp_lt_i64_e32 vcc_lo, v[12:13], v[10:11]
	v_cmp_eq_f32_e64 s4, v5, v23
	v_dual_mov_b32 v23, v22 :: v_dual_mov_b32 v24, v5
	v_cndmask_b32_e32 v13, v11, v13, vcc_lo
	s_delay_alu instid0(VALU_DEP_3) | instskip(SKIP_1) | instid1(VALU_DEP_2)
	s_and_b32 vcc_lo, s4, vcc_lo
	v_cndmask_b32_e32 v12, v10, v12, vcc_lo
	v_cndmask_b32_e64 v13, v11, v13, s4
; %bb.42:                               ;   in Loop: Header=BB6_4 Depth=1
	s_or_b32 exec_lo, exec_lo, s6
	s_delay_alu instid0(VALU_DEP_2) | instskip(NEXT) | instid1(VALU_DEP_2)
	v_mov_b32_e32 v10, v12
	v_dual_mov_b32 v22, v23 :: v_dual_mov_b32 v11, v13
	v_mov_b32_e32 v5, v24
.LBB6_43:                               ;   in Loop: Header=BB6_4 Depth=1
	;; [unrolled: 33-line block ×3, first 2 shown]
	s_or_b32 exec_lo, exec_lo, s5
	ds_bpermute_b32 v12, v20, v10
	ds_bpermute_b32 v13, v20, v11
	;; [unrolled: 1-line block ×3, first 2 shown]
	s_mov_b32 s18, exec_lo
	s_waitcnt lgkmcnt(1)
	v_cmpx_ne_u64_e32 0, v[12:13]
	s_cbranch_execz .LBB6_49
; %bb.48:                               ;   in Loop: Header=BB6_4 Depth=1
	v_cmp_lt_i64_e32 vcc_lo, v[12:13], v[10:11]
	s_waitcnt lgkmcnt(0)
	v_cmp_eq_f32_e64 s4, v5, v22
	v_cmp_eq_u64_e64 s5, 0, v[10:11]
	v_cmp_lt_f32_e64 s6, v5, v22
	s_delay_alu instid0(VALU_DEP_3) | instskip(NEXT) | instid1(VALU_DEP_1)
	s_and_b32 vcc_lo, s4, vcc_lo
	s_or_b32 s4, s5, s6
	v_cndmask_b32_e32 v11, v11, v13, vcc_lo
	s_or_b32 vcc_lo, s4, vcc_lo
	v_cndmask_b32_e64 v5, v5, v22, s4
	v_cndmask_b32_e32 v10, v10, v12, vcc_lo
	s_delay_alu instid0(VALU_DEP_3)
	v_cndmask_b32_e64 v11, v11, v13, s4
.LBB6_49:                               ;   in Loop: Header=BB6_4 Depth=1
	s_or_b32 exec_lo, exec_lo, s18
	s_waitcnt lgkmcnt(0)
	v_mov_b32_e32 v22, v5
.LBB6_50:                               ;   in Loop: Header=BB6_4 Depth=1
	s_or_b32 exec_lo, exec_lo, s15
	s_waitcnt lgkmcnt(1)
	v_cmp_ne_u64_e32 vcc_lo, 0, v[10:11]
	s_and_b32 s4, s9, vcc_lo
	s_delay_alu instid0(SALU_CYCLE_1)
	s_and_saveexec_b32 s5, s4
	s_cbranch_execz .LBB6_3
; %bb.51:                               ;   in Loop: Header=BB6_4 Depth=1
	v_cmp_ne_u64_e32 vcc_lo, 0, v[1:2]
	s_waitcnt lgkmcnt(0)
	v_cmp_ngt_f32_e64 s4, v22, v3
	v_mov_b32_e32 v5, v22
	s_delay_alu instid0(VALU_DEP_2) | instskip(NEXT) | instid1(SALU_CYCLE_1)
	s_and_b32 s4, vcc_lo, s4
	s_and_saveexec_b32 s6, s4
	s_cbranch_execz .LBB6_2
; %bb.52:                               ;   in Loop: Header=BB6_4 Depth=1
	v_cmp_lt_i64_e32 vcc_lo, v[10:11], v[1:2]
	v_cmp_eq_f32_e64 s4, v3, v22
	v_cndmask_b32_e32 v5, v2, v11, vcc_lo
	s_delay_alu instid0(VALU_DEP_2) | instskip(SKIP_1) | instid1(VALU_DEP_2)
	s_and_b32 vcc_lo, s4, vcc_lo
	v_cndmask_b32_e32 v10, v1, v10, vcc_lo
	v_cndmask_b32_e64 v11, v2, v5, s4
	v_mov_b32_e32 v5, v3
	s_branch .LBB6_2
.LBB6_53:
	v_mov_b32_e32 v1, 0
	v_mov_b32_e32 v2, 0
.LBB6_54:
	s_mov_b32 s15, 0
	s_mov_b32 s2, exec_lo
	v_cmpx_eq_u32_e32 0, v0
	s_cbranch_execz .LBB6_56
; %bb.55:
	s_clause 0x1
	s_load_b32 s2, s[0:1], 0x30
	s_load_b64 s[0:1], s[0:1], 0x28
	v_mov_b32_e32 v0, 0
	s_waitcnt lgkmcnt(0)
	s_mul_hi_u32 s3, s2, s8
	s_mul_i32 s2, s2, s8
	s_delay_alu instid0(SALU_CYCLE_1) | instskip(NEXT) | instid1(SALU_CYCLE_1)
	s_lshl_b64 s[2:3], s[2:3], 4
	s_add_u32 s2, s0, s2
	s_addc_u32 s3, s1, s3
	s_lshl_b64 s[0:1], s[14:15], 4
	s_delay_alu instid0(SALU_CYCLE_1)
	s_add_u32 s0, s2, s0
	s_addc_u32 s1, s3, s1
	global_store_b96 v0, v[1:3], s[0:1]
.LBB6_56:
	s_nop 0
	s_sendmsg sendmsg(MSG_DEALLOC_VGPRS)
	s_endpgm
	.section	.rodata,"a",@progbits
	.p2align	6, 0x0
	.amdhsa_kernel _ZL35rocblas_iamax_iamin_kernel_part1_64ILi1024E26rocblas_fetch_amax_amin_64IfE22rocblas_reduce_amax_64PKPKf24rocblas_index_64_value_tIfEEvlT2_lllPT3_
		.amdhsa_group_segment_fixed_size 512
		.amdhsa_private_segment_fixed_size 0
		.amdhsa_kernarg_size 304
		.amdhsa_user_sgpr_count 14
		.amdhsa_user_sgpr_dispatch_ptr 0
		.amdhsa_user_sgpr_queue_ptr 0
		.amdhsa_user_sgpr_kernarg_segment_ptr 1
		.amdhsa_user_sgpr_dispatch_id 0
		.amdhsa_user_sgpr_private_segment_size 0
		.amdhsa_wavefront_size32 1
		.amdhsa_uses_dynamic_stack 0
		.amdhsa_enable_private_segment 0
		.amdhsa_system_sgpr_workgroup_id_x 1
		.amdhsa_system_sgpr_workgroup_id_y 0
		.amdhsa_system_sgpr_workgroup_id_z 1
		.amdhsa_system_sgpr_workgroup_info 0
		.amdhsa_system_vgpr_workitem_id 0
		.amdhsa_next_free_vgpr 25
		.amdhsa_next_free_sgpr 24
		.amdhsa_reserve_vcc 1
		.amdhsa_float_round_mode_32 0
		.amdhsa_float_round_mode_16_64 0
		.amdhsa_float_denorm_mode_32 3
		.amdhsa_float_denorm_mode_16_64 3
		.amdhsa_dx10_clamp 1
		.amdhsa_ieee_mode 1
		.amdhsa_fp16_overflow 0
		.amdhsa_workgroup_processor_mode 1
		.amdhsa_memory_ordered 1
		.amdhsa_forward_progress 0
		.amdhsa_shared_vgpr_count 0
		.amdhsa_exception_fp_ieee_invalid_op 0
		.amdhsa_exception_fp_denorm_src 0
		.amdhsa_exception_fp_ieee_div_zero 0
		.amdhsa_exception_fp_ieee_overflow 0
		.amdhsa_exception_fp_ieee_underflow 0
		.amdhsa_exception_fp_ieee_inexact 0
		.amdhsa_exception_int_div_zero 0
	.end_amdhsa_kernel
	.section	.text._ZL35rocblas_iamax_iamin_kernel_part1_64ILi1024E26rocblas_fetch_amax_amin_64IfE22rocblas_reduce_amax_64PKPKf24rocblas_index_64_value_tIfEEvlT2_lllPT3_,"axG",@progbits,_ZL35rocblas_iamax_iamin_kernel_part1_64ILi1024E26rocblas_fetch_amax_amin_64IfE22rocblas_reduce_amax_64PKPKf24rocblas_index_64_value_tIfEEvlT2_lllPT3_,comdat
.Lfunc_end6:
	.size	_ZL35rocblas_iamax_iamin_kernel_part1_64ILi1024E26rocblas_fetch_amax_amin_64IfE22rocblas_reduce_amax_64PKPKf24rocblas_index_64_value_tIfEEvlT2_lllPT3_, .Lfunc_end6-_ZL35rocblas_iamax_iamin_kernel_part1_64ILi1024E26rocblas_fetch_amax_amin_64IfE22rocblas_reduce_amax_64PKPKf24rocblas_index_64_value_tIfEEvlT2_lllPT3_
                                        ; -- End function
	.section	.AMDGPU.csdata,"",@progbits
; Kernel info:
; codeLenInByte = 2288
; NumSgprs: 26
; NumVgprs: 25
; ScratchSize: 0
; MemoryBound: 0
; FloatMode: 240
; IeeeMode: 1
; LDSByteSize: 512 bytes/workgroup (compile time only)
; SGPRBlocks: 3
; VGPRBlocks: 3
; NumSGPRsForWavesPerEU: 26
; NumVGPRsForWavesPerEU: 25
; Occupancy: 16
; WaveLimiterHint : 0
; COMPUTE_PGM_RSRC2:SCRATCH_EN: 0
; COMPUTE_PGM_RSRC2:USER_SGPR: 14
; COMPUTE_PGM_RSRC2:TRAP_HANDLER: 0
; COMPUTE_PGM_RSRC2:TGID_X_EN: 1
; COMPUTE_PGM_RSRC2:TGID_Y_EN: 0
; COMPUTE_PGM_RSRC2:TGID_Z_EN: 1
; COMPUTE_PGM_RSRC2:TIDIG_COMP_CNT: 0
	.section	.text._ZL35rocblas_iamax_iamin_kernel_part1_64ILi1024E26rocblas_fetch_amax_amin_64IdE22rocblas_reduce_amax_64PKPKd24rocblas_index_64_value_tIdEEvlT2_lllPT3_,"axG",@progbits,_ZL35rocblas_iamax_iamin_kernel_part1_64ILi1024E26rocblas_fetch_amax_amin_64IdE22rocblas_reduce_amax_64PKPKd24rocblas_index_64_value_tIdEEvlT2_lllPT3_,comdat
	.globl	_ZL35rocblas_iamax_iamin_kernel_part1_64ILi1024E26rocblas_fetch_amax_amin_64IdE22rocblas_reduce_amax_64PKPKd24rocblas_index_64_value_tIdEEvlT2_lllPT3_ ; -- Begin function _ZL35rocblas_iamax_iamin_kernel_part1_64ILi1024E26rocblas_fetch_amax_amin_64IdE22rocblas_reduce_amax_64PKPKd24rocblas_index_64_value_tIdEEvlT2_lllPT3_
	.p2align	8
	.type	_ZL35rocblas_iamax_iamin_kernel_part1_64ILi1024E26rocblas_fetch_amax_amin_64IdE22rocblas_reduce_amax_64PKPKd24rocblas_index_64_value_tIdEEvlT2_lllPT3_,@function
_ZL35rocblas_iamax_iamin_kernel_part1_64ILi1024E26rocblas_fetch_amax_amin_64IdE22rocblas_reduce_amax_64PKPKd24rocblas_index_64_value_tIdEEvlT2_lllPT3_: ; @_ZL35rocblas_iamax_iamin_kernel_part1_64ILi1024E26rocblas_fetch_amax_amin_64IdE22rocblas_reduce_amax_64PKPKd24rocblas_index_64_value_tIdEEvlT2_lllPT3_
; %bb.0:
	s_load_b256 s[16:23], s[0:1], 0x0
	s_mov_b32 s8, s15
	s_mov_b32 s9, 0
	s_waitcnt lgkmcnt(0)
	v_cmp_lt_i64_e64 s2, s[16:17], 1
	s_delay_alu instid0(VALU_DEP_1)
	s_and_b32 vcc_lo, exec_lo, s2
	s_cbranch_vccnz .LBB7_53
; %bb.1:
	v_mbcnt_lo_u32_b32 v5, -1, 0
	v_lshl_or_b32 v24, s14, 10, v0
	s_lshl_b64 s[2:3], s[8:9], 3
	s_load_b32 s6, s[0:1], 0x30
	s_add_u32 s4, s18, s2
	v_cmp_gt_u32_e32 vcc_lo, 16, v5
	s_addc_u32 s5, s19, s3
	v_and_b32_e32 v6, 31, v0
	s_load_b64 s[4:5], s[4:5], 0x0
	s_lshl_b64 s[10:11], s[20:21], 3
	v_cndmask_b32_e64 v1, 0, 1, vcc_lo
	v_cmp_gt_u32_e32 vcc_lo, 24, v5
	v_cmp_gt_u32_e64 s2, 32, v0
	s_mov_b64 s[12:13], 0
	v_mov_b32_e32 v15, 0
	v_dual_mov_b32 v16, 0 :: v_dual_lshlrev_b32 v3, 4, v1
	v_cndmask_b32_e64 v4, 0, 1, vcc_lo
	v_cmp_gt_u32_e32 vcc_lo, 28, v5
	v_mad_u64_u32 v[1:2], null, s22, v24, 0
	s_delay_alu instid0(VALU_DEP_4) | instskip(NEXT) | instid1(VALU_DEP_4)
	v_add_lshl_u32 v25, v3, v5, 2
	v_lshlrev_b32_e32 v9, 3, v4
	v_cndmask_b32_e64 v7, 0, 1, vcc_lo
	v_cmp_gt_u32_e32 vcc_lo, 30, v5
	s_waitcnt lgkmcnt(0)
	s_lshl_b32 s7, s6, 10
	v_mad_u64_u32 v[3:4], null, s23, v24, v[2:3]
	v_cndmask_b32_e64 v8, 0, 1, vcc_lo
	v_lshlrev_b32_e32 v7, 2, v7
	v_cmp_ne_u32_e32 vcc_lo, 31, v5
	v_lshrrev_b32_e32 v2, 1, v0
	s_add_u32 s4, s4, s10
	v_lshlrev_b32_e32 v8, 1, v8
	v_add_lshl_u32 v27, v7, v5, 2
	v_add_co_ci_u32_e32 v10, vcc_lo, 0, v5, vcc_lo
	v_add_lshl_u32 v26, v9, v5, 2
	s_delay_alu instid0(VALU_DEP_4)
	v_add_lshl_u32 v28, v8, v5, 2
	v_and_b32_e32 v30, 0x1f0, v2
	v_dual_mov_b32 v2, v3 :: v_dual_mov_b32 v5, 0
	v_lshlrev_b32_e32 v23, 4, v6
	s_addc_u32 s5, s5, s11
	v_cmp_ne_u32_e32 vcc_lo, 0, v0
	s_delay_alu instid0(VALU_DEP_3) | instskip(SKIP_4) | instid1(VALU_DEP_3)
	v_lshlrev_b64 v[1:2], 3, v[1:2]
	s_mul_i32 s6, s23, s7
	s_mul_hi_u32 s9, s22, s7
	v_lshlrev_b32_e32 v29, 2, v10
	v_cmp_eq_u32_e64 s3, 0, v6
                                        ; implicit-def: $vgpr9_vgpr10
	v_add_co_u32 v17, s4, s4, v1
	s_delay_alu instid0(VALU_DEP_1)
	v_add_co_ci_u32_e64 v18, s4, s5, v2, s4
	v_dual_mov_b32 v1, v15 :: v_dual_mov_b32 v2, v16
	s_add_i32 s5, s9, s6
	s_mul_i32 s4, s22, s7
	s_xor_b32 s9, vcc_lo, -1
	s_lshl_b64 s[10:11], s[4:5], 3
	s_branch .LBB7_4
.LBB7_2:                                ;   in Loop: Header=BB7_4 Depth=1
	s_or_b32 exec_lo, exec_lo, s6
	s_delay_alu instid0(VALU_DEP_1)
	v_dual_mov_b32 v1, v7 :: v_dual_mov_b32 v2, v8
	v_dual_mov_b32 v3, v11 :: v_dual_mov_b32 v4, v12
.LBB7_3:                                ;   in Loop: Header=BB7_4 Depth=1
	s_or_b32 exec_lo, exec_lo, s5
	s_add_u32 s12, s12, s7
	s_addc_u32 s13, s13, 0
	v_add_co_u32 v17, vcc_lo, v17, s10
	v_cmp_ge_i64_e64 s4, s[12:13], s[16:17]
	v_add_co_ci_u32_e32 v18, vcc_lo, s11, v18, vcc_lo
	s_delay_alu instid0(VALU_DEP_2)
	s_and_b32 vcc_lo, exec_lo, s4
	s_cbranch_vccnz .LBB7_54
.LBB7_4:                                ; =>This Inner Loop Header: Depth=1
	v_add_co_u32 v6, s4, v24, s12
	s_delay_alu instid0(VALU_DEP_1) | instskip(SKIP_2) | instid1(VALU_DEP_2)
	v_add_co_ci_u32_e64 v7, null, 0, s13, s4
	v_dual_mov_b32 v11, v15 :: v_dual_mov_b32 v12, v16
	s_mov_b32 s5, exec_lo
	v_cmpx_gt_i64_e64 s[16:17], v[6:7]
	s_cbranch_execz .LBB7_6
; %bb.5:                                ;   in Loop: Header=BB7_4 Depth=1
	global_load_b64 v[8:9], v[17:18], off
	v_add_co_u32 v11, s4, v6, 1
	s_delay_alu instid0(VALU_DEP_1) | instskip(SKIP_3) | instid1(VALU_DEP_1)
	v_add_co_ci_u32_e64 v12, s4, 0, v7, s4
	s_waitcnt vmcnt(0)
	v_cmp_gt_f64_e32 vcc_lo, 0, v[8:9]
	v_xor_b32_e32 v10, 0x80000000, v9
	v_dual_cndmask_b32 v10, v9, v10 :: v_dual_cndmask_b32 v9, v8, v8
.LBB7_6:                                ;   in Loop: Header=BB7_4 Depth=1
	s_or_b32 exec_lo, exec_lo, s5
	s_and_saveexec_b32 s4, s2
	s_cbranch_execz .LBB7_8
; %bb.7:                                ;   in Loop: Header=BB7_4 Depth=1
	v_mov_b32_e32 v6, v5
	v_mov_b32_e32 v7, v5
	;; [unrolled: 1-line block ×3, first 2 shown]
	ds_store_b128 v23, v[5:8]
.LBB7_8:                                ;   in Loop: Header=BB7_4 Depth=1
	s_or_b32 exec_lo, exec_lo, s4
	ds_bpermute_b32 v6, v25, v11
	ds_bpermute_b32 v7, v25, v12
	;; [unrolled: 1-line block ×4, first 2 shown]
	v_dual_mov_b32 v14, v10 :: v_dual_mov_b32 v13, v9
	s_mov_b32 s5, exec_lo
	s_waitcnt lgkmcnt(0)
	s_barrier
	buffer_gl0_inv
	v_cmpx_ne_u64_e32 0, v[6:7]
	s_cbranch_execz .LBB7_12
; %bb.9:                                ;   in Loop: Header=BB7_4 Depth=1
	v_cmp_nlt_f64_e32 vcc_lo, v[9:10], v[19:20]
	v_cmp_ne_u64_e64 s4, 0, v[11:12]
	v_dual_mov_b32 v13, v19 :: v_dual_mov_b32 v14, v20
	s_delay_alu instid0(VALU_DEP_2) | instskip(NEXT) | instid1(SALU_CYCLE_1)
	s_and_b32 s4, s4, vcc_lo
	s_and_saveexec_b32 s6, s4
; %bb.10:                               ;   in Loop: Header=BB7_4 Depth=1
	v_cmp_eq_f64_e64 s4, v[9:10], v[19:20]
	v_cmp_lt_i64_e32 vcc_lo, v[6:7], v[11:12]
	v_dual_mov_b32 v19, v9 :: v_dual_mov_b32 v20, v10
	v_dual_mov_b32 v14, v10 :: v_dual_cndmask_b32 v7, v12, v7
	s_delay_alu instid0(VALU_DEP_4) | instskip(SKIP_1) | instid1(VALU_DEP_2)
	s_and_b32 vcc_lo, s4, vcc_lo
	v_dual_mov_b32 v13, v9 :: v_dual_cndmask_b32 v6, v11, v6
	v_cndmask_b32_e64 v7, v12, v7, s4
; %bb.11:                               ;   in Loop: Header=BB7_4 Depth=1
	s_or_b32 exec_lo, exec_lo, s6
	v_dual_mov_b32 v10, v20 :: v_dual_mov_b32 v9, v19
	s_delay_alu instid0(VALU_DEP_2)
	v_dual_mov_b32 v12, v7 :: v_dual_mov_b32 v11, v6
.LBB7_12:                               ;   in Loop: Header=BB7_4 Depth=1
	s_or_b32 exec_lo, exec_lo, s5
	ds_bpermute_b32 v6, v26, v11
	ds_bpermute_b32 v7, v26, v12
	;; [unrolled: 1-line block ×4, first 2 shown]
	s_mov_b32 s5, exec_lo
	s_waitcnt lgkmcnt(2)
	v_cmpx_ne_u64_e32 0, v[6:7]
	s_cbranch_execz .LBB7_16
; %bb.13:                               ;   in Loop: Header=BB7_4 Depth=1
	s_waitcnt lgkmcnt(0)
	v_cmp_nlt_f64_e32 vcc_lo, v[13:14], v[19:20]
	v_cmp_ne_u64_e64 s4, 0, v[11:12]
	v_dual_mov_b32 v22, v20 :: v_dual_mov_b32 v21, v19
	s_delay_alu instid0(VALU_DEP_2) | instskip(NEXT) | instid1(SALU_CYCLE_1)
	s_and_b32 s4, s4, vcc_lo
	s_and_saveexec_b32 s6, s4
; %bb.14:                               ;   in Loop: Header=BB7_4 Depth=1
	v_cmp_eq_f64_e64 s4, v[13:14], v[19:20]
	v_cmp_lt_i64_e32 vcc_lo, v[6:7], v[11:12]
	v_dual_mov_b32 v19, v9 :: v_dual_mov_b32 v20, v10
	v_dual_mov_b32 v22, v14 :: v_dual_cndmask_b32 v7, v12, v7
	s_delay_alu instid0(VALU_DEP_4) | instskip(SKIP_1) | instid1(VALU_DEP_2)
	s_and_b32 vcc_lo, s4, vcc_lo
	v_dual_mov_b32 v21, v13 :: v_dual_cndmask_b32 v6, v11, v6
	v_cndmask_b32_e64 v7, v12, v7, s4
; %bb.15:                               ;   in Loop: Header=BB7_4 Depth=1
	s_or_b32 exec_lo, exec_lo, s6
	v_dual_mov_b32 v10, v20 :: v_dual_mov_b32 v9, v19
	s_delay_alu instid0(VALU_DEP_2)
	v_dual_mov_b32 v12, v7 :: v_dual_mov_b32 v11, v6
	v_dual_mov_b32 v13, v21 :: v_dual_mov_b32 v14, v22
.LBB7_16:                               ;   in Loop: Header=BB7_4 Depth=1
	s_or_b32 exec_lo, exec_lo, s5
	ds_bpermute_b32 v6, v27, v11
	ds_bpermute_b32 v7, v27, v12
	s_waitcnt lgkmcnt(3)
	ds_bpermute_b32 v19, v27, v9
	s_waitcnt lgkmcnt(3)
	ds_bpermute_b32 v20, v27, v10
	s_mov_b32 s5, exec_lo
	s_waitcnt lgkmcnt(2)
	v_cmpx_ne_u64_e32 0, v[6:7]
	s_cbranch_execz .LBB7_20
; %bb.17:                               ;   in Loop: Header=BB7_4 Depth=1
	s_waitcnt lgkmcnt(0)
	v_cmp_nlt_f64_e32 vcc_lo, v[13:14], v[19:20]
	v_cmp_ne_u64_e64 s4, 0, v[11:12]
	v_dual_mov_b32 v22, v20 :: v_dual_mov_b32 v21, v19
	s_delay_alu instid0(VALU_DEP_2) | instskip(NEXT) | instid1(SALU_CYCLE_1)
	s_and_b32 s4, s4, vcc_lo
	s_and_saveexec_b32 s6, s4
; %bb.18:                               ;   in Loop: Header=BB7_4 Depth=1
	v_cmp_eq_f64_e64 s4, v[13:14], v[19:20]
	v_cmp_lt_i64_e32 vcc_lo, v[6:7], v[11:12]
	v_dual_mov_b32 v19, v9 :: v_dual_mov_b32 v20, v10
	v_dual_mov_b32 v22, v14 :: v_dual_cndmask_b32 v7, v12, v7
	s_delay_alu instid0(VALU_DEP_4) | instskip(SKIP_1) | instid1(VALU_DEP_2)
	s_and_b32 vcc_lo, s4, vcc_lo
	v_dual_mov_b32 v21, v13 :: v_dual_cndmask_b32 v6, v11, v6
	v_cndmask_b32_e64 v7, v12, v7, s4
; %bb.19:                               ;   in Loop: Header=BB7_4 Depth=1
	s_or_b32 exec_lo, exec_lo, s6
	v_dual_mov_b32 v10, v20 :: v_dual_mov_b32 v9, v19
	s_delay_alu instid0(VALU_DEP_2)
	v_dual_mov_b32 v12, v7 :: v_dual_mov_b32 v11, v6
	v_dual_mov_b32 v13, v21 :: v_dual_mov_b32 v14, v22
.LBB7_20:                               ;   in Loop: Header=BB7_4 Depth=1
	s_or_b32 exec_lo, exec_lo, s5
	ds_bpermute_b32 v6, v28, v11
	ds_bpermute_b32 v7, v28, v12
	s_waitcnt lgkmcnt(3)
	ds_bpermute_b32 v19, v28, v9
	s_waitcnt lgkmcnt(3)
	ds_bpermute_b32 v20, v28, v10
	s_mov_b32 s5, exec_lo
	s_waitcnt lgkmcnt(2)
	v_cmpx_ne_u64_e32 0, v[6:7]
	s_cbranch_execz .LBB7_24
; %bb.21:                               ;   in Loop: Header=BB7_4 Depth=1
	s_waitcnt lgkmcnt(0)
	v_cmp_nlt_f64_e32 vcc_lo, v[13:14], v[19:20]
	v_cmp_ne_u64_e64 s4, 0, v[11:12]
	v_dual_mov_b32 v22, v20 :: v_dual_mov_b32 v21, v19
	s_delay_alu instid0(VALU_DEP_2) | instskip(NEXT) | instid1(SALU_CYCLE_1)
	s_and_b32 s4, s4, vcc_lo
	s_and_saveexec_b32 s6, s4
; %bb.22:                               ;   in Loop: Header=BB7_4 Depth=1
	v_cmp_eq_f64_e64 s4, v[13:14], v[19:20]
	v_cmp_lt_i64_e32 vcc_lo, v[6:7], v[11:12]
	v_dual_mov_b32 v19, v9 :: v_dual_mov_b32 v20, v10
	v_dual_mov_b32 v22, v14 :: v_dual_cndmask_b32 v7, v12, v7
	s_delay_alu instid0(VALU_DEP_4) | instskip(SKIP_1) | instid1(VALU_DEP_2)
	s_and_b32 vcc_lo, s4, vcc_lo
	v_dual_mov_b32 v21, v13 :: v_dual_cndmask_b32 v6, v11, v6
	v_cndmask_b32_e64 v7, v12, v7, s4
; %bb.23:                               ;   in Loop: Header=BB7_4 Depth=1
	s_or_b32 exec_lo, exec_lo, s6
	v_dual_mov_b32 v10, v20 :: v_dual_mov_b32 v9, v19
	s_delay_alu instid0(VALU_DEP_2)
	v_dual_mov_b32 v12, v7 :: v_dual_mov_b32 v11, v6
	v_dual_mov_b32 v13, v21 :: v_dual_mov_b32 v14, v22
.LBB7_24:                               ;   in Loop: Header=BB7_4 Depth=1
	s_or_b32 exec_lo, exec_lo, s5
	s_waitcnt lgkmcnt(1)
	ds_bpermute_b32 v19, v29, v11
	s_waitcnt lgkmcnt(1)
	ds_bpermute_b32 v20, v29, v12
	ds_bpermute_b32 v6, v29, v9
	;; [unrolled: 1-line block ×3, first 2 shown]
	s_mov_b32 s15, exec_lo
	s_waitcnt lgkmcnt(2)
	v_cmpx_ne_u64_e32 0, v[19:20]
	s_cbranch_execz .LBB7_26
; %bb.25:                               ;   in Loop: Header=BB7_4 Depth=1
	s_waitcnt lgkmcnt(0)
	v_cmp_eq_f64_e32 vcc_lo, v[13:14], v[6:7]
	v_cmp_lt_f64_e64 s4, v[13:14], v[6:7]
	v_cmp_lt_i64_e64 s5, v[19:20], v[11:12]
	v_cmp_eq_u64_e64 s6, 0, v[11:12]
	s_delay_alu instid0(VALU_DEP_2) | instskip(NEXT) | instid1(VALU_DEP_1)
	s_and_b32 vcc_lo, vcc_lo, s5
	s_or_b32 s4, s6, s4
	v_cndmask_b32_e32 v8, v12, v20, vcc_lo
	s_or_b32 vcc_lo, s4, vcc_lo
	v_cndmask_b32_e64 v14, v14, v7, s4
	v_cndmask_b32_e32 v11, v11, v19, vcc_lo
	v_cndmask_b32_e64 v13, v13, v6, s4
	v_cndmask_b32_e64 v12, v8, v20, s4
.LBB7_26:                               ;   in Loop: Header=BB7_4 Depth=1
	s_or_b32 exec_lo, exec_lo, s15
	s_and_saveexec_b32 s4, s3
	s_cbranch_execz .LBB7_28
; %bb.27:                               ;   in Loop: Header=BB7_4 Depth=1
	ds_store_b128 v30, v[11:14]
.LBB7_28:                               ;   in Loop: Header=BB7_4 Depth=1
	s_or_b32 exec_lo, exec_lo, s4
	s_waitcnt lgkmcnt(0)
	v_mov_b32_e32 v7, 0
	v_dual_mov_b32 v8, 0 :: v_dual_mov_b32 v9, 0
	v_mov_b32_e32 v10, 0
	s_barrier
	buffer_gl0_inv
	s_and_saveexec_b32 s4, s2
	s_cbranch_execz .LBB7_30
; %bb.29:                               ;   in Loop: Header=BB7_4 Depth=1
	ds_load_b128 v[7:10], v23
.LBB7_30:                               ;   in Loop: Header=BB7_4 Depth=1
	s_or_b32 exec_lo, exec_lo, s4
	s_and_saveexec_b32 s15, s2
	s_cbranch_execz .LBB7_50
; %bb.31:                               ;   in Loop: Header=BB7_4 Depth=1
	s_waitcnt lgkmcnt(0)
	ds_bpermute_b32 v13, v25, v7
	ds_bpermute_b32 v14, v25, v8
	;; [unrolled: 1-line block ×4, first 2 shown]
	v_dual_mov_b32 v12, v10 :: v_dual_mov_b32 v11, v9
	s_mov_b32 s5, exec_lo
	s_waitcnt lgkmcnt(2)
	v_cmpx_ne_u64_e32 0, v[13:14]
	s_cbranch_execz .LBB7_35
; %bb.32:                               ;   in Loop: Header=BB7_4 Depth=1
	s_waitcnt lgkmcnt(0)
	v_cmp_nlt_f64_e32 vcc_lo, v[9:10], v[19:20]
	v_cmp_ne_u64_e64 s4, 0, v[7:8]
	v_dual_mov_b32 v11, v19 :: v_dual_mov_b32 v12, v20
	s_delay_alu instid0(VALU_DEP_2) | instskip(NEXT) | instid1(SALU_CYCLE_1)
	s_and_b32 s4, s4, vcc_lo
	s_and_saveexec_b32 s6, s4
; %bb.33:                               ;   in Loop: Header=BB7_4 Depth=1
	v_cmp_eq_f64_e64 s4, v[9:10], v[19:20]
	v_cmp_lt_i64_e32 vcc_lo, v[13:14], v[7:8]
	v_dual_mov_b32 v12, v10 :: v_dual_mov_b32 v19, v9
	v_dual_mov_b32 v11, v9 :: v_dual_mov_b32 v20, v10
	v_cndmask_b32_e32 v6, v8, v14, vcc_lo
	s_and_b32 vcc_lo, s4, vcc_lo
	s_delay_alu instid0(VALU_DEP_1)
	v_cndmask_b32_e64 v14, v8, v6, s4
	v_cndmask_b32_e32 v13, v7, v13, vcc_lo
; %bb.34:                               ;   in Loop: Header=BB7_4 Depth=1
	s_or_b32 exec_lo, exec_lo, s6
	v_dual_mov_b32 v10, v20 :: v_dual_mov_b32 v9, v19
	s_delay_alu instid0(VALU_DEP_2)
	v_dual_mov_b32 v7, v13 :: v_dual_mov_b32 v8, v14
.LBB7_35:                               ;   in Loop: Header=BB7_4 Depth=1
	s_or_b32 exec_lo, exec_lo, s5
	ds_bpermute_b32 v13, v26, v7
	ds_bpermute_b32 v14, v26, v8
	s_waitcnt lgkmcnt(3)
	ds_bpermute_b32 v19, v26, v9
	s_waitcnt lgkmcnt(3)
	ds_bpermute_b32 v20, v26, v10
	s_mov_b32 s5, exec_lo
	s_waitcnt lgkmcnt(2)
	v_cmpx_ne_u64_e32 0, v[13:14]
	s_cbranch_execz .LBB7_39
; %bb.36:                               ;   in Loop: Header=BB7_4 Depth=1
	s_waitcnt lgkmcnt(0)
	v_cmp_nlt_f64_e32 vcc_lo, v[11:12], v[19:20]
	v_cmp_ne_u64_e64 s4, 0, v[7:8]
	v_dual_mov_b32 v22, v20 :: v_dual_mov_b32 v21, v19
	s_delay_alu instid0(VALU_DEP_2) | instskip(NEXT) | instid1(SALU_CYCLE_1)
	s_and_b32 s4, s4, vcc_lo
	s_and_saveexec_b32 s6, s4
; %bb.37:                               ;   in Loop: Header=BB7_4 Depth=1
	v_cmp_eq_f64_e64 s4, v[11:12], v[19:20]
	v_cmp_lt_i64_e32 vcc_lo, v[13:14], v[7:8]
	v_dual_mov_b32 v22, v12 :: v_dual_mov_b32 v19, v9
	v_dual_mov_b32 v21, v11 :: v_dual_mov_b32 v20, v10
	v_cndmask_b32_e32 v6, v8, v14, vcc_lo
	s_and_b32 vcc_lo, s4, vcc_lo
	s_delay_alu instid0(VALU_DEP_1)
	v_cndmask_b32_e64 v14, v8, v6, s4
	v_cndmask_b32_e32 v13, v7, v13, vcc_lo
; %bb.38:                               ;   in Loop: Header=BB7_4 Depth=1
	s_or_b32 exec_lo, exec_lo, s6
	v_dual_mov_b32 v10, v20 :: v_dual_mov_b32 v9, v19
	s_delay_alu instid0(VALU_DEP_2)
	v_dual_mov_b32 v7, v13 :: v_dual_mov_b32 v8, v14
	v_dual_mov_b32 v11, v21 :: v_dual_mov_b32 v12, v22
.LBB7_39:                               ;   in Loop: Header=BB7_4 Depth=1
	s_or_b32 exec_lo, exec_lo, s5
	ds_bpermute_b32 v13, v27, v7
	ds_bpermute_b32 v14, v27, v8
	s_waitcnt lgkmcnt(3)
	ds_bpermute_b32 v19, v27, v9
	s_waitcnt lgkmcnt(3)
	ds_bpermute_b32 v20, v27, v10
	s_mov_b32 s5, exec_lo
	s_waitcnt lgkmcnt(2)
	v_cmpx_ne_u64_e32 0, v[13:14]
	s_cbranch_execz .LBB7_43
; %bb.40:                               ;   in Loop: Header=BB7_4 Depth=1
	s_waitcnt lgkmcnt(0)
	v_cmp_nlt_f64_e32 vcc_lo, v[11:12], v[19:20]
	v_cmp_ne_u64_e64 s4, 0, v[7:8]
	v_dual_mov_b32 v22, v20 :: v_dual_mov_b32 v21, v19
	s_delay_alu instid0(VALU_DEP_2) | instskip(NEXT) | instid1(SALU_CYCLE_1)
	s_and_b32 s4, s4, vcc_lo
	s_and_saveexec_b32 s6, s4
; %bb.41:                               ;   in Loop: Header=BB7_4 Depth=1
	v_cmp_eq_f64_e64 s4, v[11:12], v[19:20]
	v_cmp_lt_i64_e32 vcc_lo, v[13:14], v[7:8]
	v_dual_mov_b32 v22, v12 :: v_dual_mov_b32 v19, v9
	v_dual_mov_b32 v21, v11 :: v_dual_mov_b32 v20, v10
	v_cndmask_b32_e32 v6, v8, v14, vcc_lo
	s_and_b32 vcc_lo, s4, vcc_lo
	s_delay_alu instid0(VALU_DEP_1)
	v_cndmask_b32_e64 v14, v8, v6, s4
	v_cndmask_b32_e32 v13, v7, v13, vcc_lo
; %bb.42:                               ;   in Loop: Header=BB7_4 Depth=1
	s_or_b32 exec_lo, exec_lo, s6
	v_dual_mov_b32 v10, v20 :: v_dual_mov_b32 v9, v19
	s_delay_alu instid0(VALU_DEP_2)
	v_dual_mov_b32 v7, v13 :: v_dual_mov_b32 v8, v14
	v_dual_mov_b32 v11, v21 :: v_dual_mov_b32 v12, v22
.LBB7_43:                               ;   in Loop: Header=BB7_4 Depth=1
	;; [unrolled: 36-line block ×3, first 2 shown]
	s_or_b32 exec_lo, exec_lo, s5
	ds_bpermute_b32 v13, v29, v7
	ds_bpermute_b32 v14, v29, v8
	ds_bpermute_b32 v9, v29, v9
	ds_bpermute_b32 v10, v29, v10
	s_mov_b32 s18, exec_lo
	s_waitcnt lgkmcnt(2)
	v_cmpx_ne_u64_e32 0, v[13:14]
	s_cbranch_execz .LBB7_49
; %bb.48:                               ;   in Loop: Header=BB7_4 Depth=1
	s_waitcnt lgkmcnt(0)
	v_cmp_eq_f64_e32 vcc_lo, v[11:12], v[9:10]
	v_cmp_lt_f64_e64 s4, v[11:12], v[9:10]
	v_cmp_lt_i64_e64 s5, v[13:14], v[7:8]
	v_cmp_eq_u64_e64 s6, 0, v[7:8]
	s_delay_alu instid0(VALU_DEP_2) | instskip(NEXT) | instid1(VALU_DEP_1)
	s_and_b32 vcc_lo, vcc_lo, s5
	s_or_b32 s4, s6, s4
	v_cndmask_b32_e32 v6, v8, v14, vcc_lo
	s_or_b32 vcc_lo, s4, vcc_lo
	v_cndmask_b32_e64 v12, v12, v10, s4
	v_cndmask_b32_e32 v7, v7, v13, vcc_lo
	v_cndmask_b32_e64 v11, v11, v9, s4
	v_cndmask_b32_e64 v8, v6, v14, s4
.LBB7_49:                               ;   in Loop: Header=BB7_4 Depth=1
	s_or_b32 exec_lo, exec_lo, s18
	s_waitcnt lgkmcnt(0)
	s_delay_alu instid0(VALU_DEP_2)
	v_dual_mov_b32 v9, v11 :: v_dual_mov_b32 v10, v12
.LBB7_50:                               ;   in Loop: Header=BB7_4 Depth=1
	s_or_b32 exec_lo, exec_lo, s15
	s_waitcnt lgkmcnt(0)
	v_cmp_ne_u64_e32 vcc_lo, 0, v[7:8]
	s_and_b32 s4, s9, vcc_lo
	s_delay_alu instid0(SALU_CYCLE_1)
	s_and_saveexec_b32 s5, s4
	s_cbranch_execz .LBB7_3
; %bb.51:                               ;   in Loop: Header=BB7_4 Depth=1
	v_cmp_ngt_f64_e32 vcc_lo, v[9:10], v[3:4]
	v_cmp_ne_u64_e64 s4, 0, v[1:2]
	v_dual_mov_b32 v12, v10 :: v_dual_mov_b32 v11, v9
	s_delay_alu instid0(VALU_DEP_2) | instskip(NEXT) | instid1(SALU_CYCLE_1)
	s_and_b32 s4, s4, vcc_lo
	s_and_saveexec_b32 s6, s4
	s_cbranch_execz .LBB7_2
; %bb.52:                               ;   in Loop: Header=BB7_4 Depth=1
	v_cmp_eq_f64_e64 s4, v[3:4], v[9:10]
	v_cmp_lt_i64_e32 vcc_lo, v[7:8], v[1:2]
	v_dual_mov_b32 v12, v4 :: v_dual_mov_b32 v11, v3
	v_cndmask_b32_e32 v6, v2, v8, vcc_lo
	s_delay_alu instid0(VALU_DEP_4) | instskip(SKIP_1) | instid1(VALU_DEP_2)
	s_and_b32 vcc_lo, s4, vcc_lo
	v_cndmask_b32_e32 v7, v1, v7, vcc_lo
	v_cndmask_b32_e64 v8, v2, v6, s4
	s_branch .LBB7_2
.LBB7_53:
	v_mov_b32_e32 v1, 0
	v_mov_b32_e32 v2, 0
.LBB7_54:
	s_mov_b32 s15, 0
	s_mov_b32 s2, exec_lo
	v_cmpx_eq_u32_e32 0, v0
	s_cbranch_execz .LBB7_56
; %bb.55:
	s_clause 0x1
	s_load_b32 s2, s[0:1], 0x30
	s_load_b64 s[0:1], s[0:1], 0x28
	v_mov_b32_e32 v0, 0
	s_waitcnt lgkmcnt(0)
	s_mul_hi_u32 s3, s2, s8
	s_mul_i32 s2, s2, s8
	s_delay_alu instid0(SALU_CYCLE_1) | instskip(NEXT) | instid1(SALU_CYCLE_1)
	s_lshl_b64 s[2:3], s[2:3], 4
	s_add_u32 s2, s0, s2
	s_addc_u32 s3, s1, s3
	s_lshl_b64 s[0:1], s[14:15], 4
	s_delay_alu instid0(SALU_CYCLE_1)
	s_add_u32 s0, s2, s0
	s_addc_u32 s1, s3, s1
	global_store_b128 v0, v[1:4], s[0:1]
.LBB7_56:
	s_nop 0
	s_sendmsg sendmsg(MSG_DEALLOC_VGPRS)
	s_endpgm
	.section	.rodata,"a",@progbits
	.p2align	6, 0x0
	.amdhsa_kernel _ZL35rocblas_iamax_iamin_kernel_part1_64ILi1024E26rocblas_fetch_amax_amin_64IdE22rocblas_reduce_amax_64PKPKd24rocblas_index_64_value_tIdEEvlT2_lllPT3_
		.amdhsa_group_segment_fixed_size 512
		.amdhsa_private_segment_fixed_size 0
		.amdhsa_kernarg_size 304
		.amdhsa_user_sgpr_count 14
		.amdhsa_user_sgpr_dispatch_ptr 0
		.amdhsa_user_sgpr_queue_ptr 0
		.amdhsa_user_sgpr_kernarg_segment_ptr 1
		.amdhsa_user_sgpr_dispatch_id 0
		.amdhsa_user_sgpr_private_segment_size 0
		.amdhsa_wavefront_size32 1
		.amdhsa_uses_dynamic_stack 0
		.amdhsa_enable_private_segment 0
		.amdhsa_system_sgpr_workgroup_id_x 1
		.amdhsa_system_sgpr_workgroup_id_y 0
		.amdhsa_system_sgpr_workgroup_id_z 1
		.amdhsa_system_sgpr_workgroup_info 0
		.amdhsa_system_vgpr_workitem_id 0
		.amdhsa_next_free_vgpr 31
		.amdhsa_next_free_sgpr 24
		.amdhsa_reserve_vcc 1
		.amdhsa_float_round_mode_32 0
		.amdhsa_float_round_mode_16_64 0
		.amdhsa_float_denorm_mode_32 3
		.amdhsa_float_denorm_mode_16_64 3
		.amdhsa_dx10_clamp 1
		.amdhsa_ieee_mode 1
		.amdhsa_fp16_overflow 0
		.amdhsa_workgroup_processor_mode 1
		.amdhsa_memory_ordered 1
		.amdhsa_forward_progress 0
		.amdhsa_shared_vgpr_count 0
		.amdhsa_exception_fp_ieee_invalid_op 0
		.amdhsa_exception_fp_denorm_src 0
		.amdhsa_exception_fp_ieee_div_zero 0
		.amdhsa_exception_fp_ieee_overflow 0
		.amdhsa_exception_fp_ieee_underflow 0
		.amdhsa_exception_fp_ieee_inexact 0
		.amdhsa_exception_int_div_zero 0
	.end_amdhsa_kernel
	.section	.text._ZL35rocblas_iamax_iamin_kernel_part1_64ILi1024E26rocblas_fetch_amax_amin_64IdE22rocblas_reduce_amax_64PKPKd24rocblas_index_64_value_tIdEEvlT2_lllPT3_,"axG",@progbits,_ZL35rocblas_iamax_iamin_kernel_part1_64ILi1024E26rocblas_fetch_amax_amin_64IdE22rocblas_reduce_amax_64PKPKd24rocblas_index_64_value_tIdEEvlT2_lllPT3_,comdat
.Lfunc_end7:
	.size	_ZL35rocblas_iamax_iamin_kernel_part1_64ILi1024E26rocblas_fetch_amax_amin_64IdE22rocblas_reduce_amax_64PKPKd24rocblas_index_64_value_tIdEEvlT2_lllPT3_, .Lfunc_end7-_ZL35rocblas_iamax_iamin_kernel_part1_64ILi1024E26rocblas_fetch_amax_amin_64IdE22rocblas_reduce_amax_64PKPKd24rocblas_index_64_value_tIdEEvlT2_lllPT3_
                                        ; -- End function
	.section	.AMDGPU.csdata,"",@progbits
; Kernel info:
; codeLenInByte = 2584
; NumSgprs: 26
; NumVgprs: 31
; ScratchSize: 0
; MemoryBound: 0
; FloatMode: 240
; IeeeMode: 1
; LDSByteSize: 512 bytes/workgroup (compile time only)
; SGPRBlocks: 3
; VGPRBlocks: 3
; NumSGPRsForWavesPerEU: 26
; NumVGPRsForWavesPerEU: 31
; Occupancy: 16
; WaveLimiterHint : 0
; COMPUTE_PGM_RSRC2:SCRATCH_EN: 0
; COMPUTE_PGM_RSRC2:USER_SGPR: 14
; COMPUTE_PGM_RSRC2:TRAP_HANDLER: 0
; COMPUTE_PGM_RSRC2:TGID_X_EN: 1
; COMPUTE_PGM_RSRC2:TGID_Y_EN: 0
; COMPUTE_PGM_RSRC2:TGID_Z_EN: 1
; COMPUTE_PGM_RSRC2:TIDIG_COMP_CNT: 0
	.section	.text._ZL35rocblas_iamax_iamin_kernel_part1_64ILi1024E26rocblas_fetch_amax_amin_64IfE22rocblas_reduce_amax_64PKPK19rocblas_complex_numIfE24rocblas_index_64_value_tIfEEvlT2_lllPT3_,"axG",@progbits,_ZL35rocblas_iamax_iamin_kernel_part1_64ILi1024E26rocblas_fetch_amax_amin_64IfE22rocblas_reduce_amax_64PKPK19rocblas_complex_numIfE24rocblas_index_64_value_tIfEEvlT2_lllPT3_,comdat
	.globl	_ZL35rocblas_iamax_iamin_kernel_part1_64ILi1024E26rocblas_fetch_amax_amin_64IfE22rocblas_reduce_amax_64PKPK19rocblas_complex_numIfE24rocblas_index_64_value_tIfEEvlT2_lllPT3_ ; -- Begin function _ZL35rocblas_iamax_iamin_kernel_part1_64ILi1024E26rocblas_fetch_amax_amin_64IfE22rocblas_reduce_amax_64PKPK19rocblas_complex_numIfE24rocblas_index_64_value_tIfEEvlT2_lllPT3_
	.p2align	8
	.type	_ZL35rocblas_iamax_iamin_kernel_part1_64ILi1024E26rocblas_fetch_amax_amin_64IfE22rocblas_reduce_amax_64PKPK19rocblas_complex_numIfE24rocblas_index_64_value_tIfEEvlT2_lllPT3_,@function
_ZL35rocblas_iamax_iamin_kernel_part1_64ILi1024E26rocblas_fetch_amax_amin_64IfE22rocblas_reduce_amax_64PKPK19rocblas_complex_numIfE24rocblas_index_64_value_tIfEEvlT2_lllPT3_: ; @_ZL35rocblas_iamax_iamin_kernel_part1_64ILi1024E26rocblas_fetch_amax_amin_64IfE22rocblas_reduce_amax_64PKPK19rocblas_complex_numIfE24rocblas_index_64_value_tIfEEvlT2_lllPT3_
; %bb.0:
	s_load_b256 s[16:23], s[0:1], 0x0
	s_mov_b32 s8, s15
	s_mov_b32 s9, 0
	s_waitcnt lgkmcnt(0)
	v_cmp_lt_i64_e64 s2, s[16:17], 1
	s_delay_alu instid0(VALU_DEP_1)
	s_and_b32 vcc_lo, exec_lo, s2
	s_cbranch_vccnz .LBB8_53
; %bb.1:
	v_mbcnt_lo_u32_b32 v5, -1, 0
	v_lshl_or_b32 v14, s14, 10, v0
	s_lshl_b64 s[2:3], s[8:9], 3
	s_load_b32 s6, s[0:1], 0x30
	s_add_u32 s2, s18, s2
	v_cmp_gt_u32_e32 vcc_lo, 16, v5
	s_addc_u32 s3, s19, s3
	v_and_b32_e32 v6, 31, v0
	s_load_b64 s[4:5], s[2:3], 0x0
	s_lshl_b64 s[10:11], s[20:21], 3
	v_cndmask_b32_e64 v1, 0, 1, vcc_lo
	v_cmp_gt_u32_e32 vcc_lo, 24, v5
	v_cmp_eq_u32_e64 s3, 0, v6
	v_cmp_gt_u32_e64 s2, 32, v0
	s_mov_b64 s[12:13], 0
	v_lshlrev_b32_e32 v3, 4, v1
	v_cndmask_b32_e64 v4, 0, 1, vcc_lo
	v_cmp_gt_u32_e32 vcc_lo, 28, v5
	v_mad_u64_u32 v[1:2], null, s22, v14, 0
	s_delay_alu instid0(VALU_DEP_4) | instskip(NEXT) | instid1(VALU_DEP_4)
	v_add_lshl_u32 v16, v3, v5, 2
	v_lshlrev_b32_e32 v9, 3, v4
	v_cndmask_b32_e64 v7, 0, 1, vcc_lo
	v_cmp_gt_u32_e32 vcc_lo, 30, v5
	s_waitcnt lgkmcnt(0)
	s_lshl_b32 s7, s6, 10
                                        ; implicit-def: $vgpr22
	v_mad_u64_u32 v[3:4], null, s23, v14, v[2:3]
	v_cndmask_b32_e64 v8, 0, 1, vcc_lo
	v_cmp_ne_u32_e32 vcc_lo, 31, v5
	v_lshlrev_b32_e32 v7, 2, v7
	v_lshlrev_b32_e32 v15, 4, v6
	s_add_u32 s4, s4, s10
	v_lshlrev_b32_e32 v8, 1, v8
	v_add_co_ci_u32_e32 v2, vcc_lo, 0, v5, vcc_lo
	v_add_lshl_u32 v18, v7, v5, 2
	v_mov_b32_e32 v6, 0
	s_delay_alu instid0(VALU_DEP_3)
	v_dual_mov_b32 v7, 0 :: v_dual_lshlrev_b32 v20, 2, v2
	v_mov_b32_e32 v2, v3
	s_addc_u32 s5, s5, s11
	v_lshrrev_b32_e32 v4, 1, v0
	v_add_lshl_u32 v19, v8, v5, 2
	v_cmp_ne_u32_e32 vcc_lo, 0, v0
	v_lshlrev_b64 v[1:2], 3, v[1:2]
	v_add_lshl_u32 v17, v9, v5, 2
	s_mul_hi_u32 s6, s22, s7
	v_dual_mov_b32 v4, 0 :: v_dual_and_b32 v21, 0x1f0, v4
	s_xor_b32 s9, vcc_lo, -1
	s_delay_alu instid0(VALU_DEP_3) | instskip(NEXT) | instid1(VALU_DEP_1)
	v_add_co_u32 v1, s4, s4, v1
	v_add_co_ci_u32_e64 v2, s4, s5, v2, s4
	s_mul_i32 s5, s23, s7
	s_delay_alu instid0(VALU_DEP_2) | instskip(NEXT) | instid1(VALU_DEP_1)
	v_add_co_u32 v8, s4, v1, 4
	v_add_co_ci_u32_e64 v9, s4, 0, v2, s4
	v_dual_mov_b32 v1, v6 :: v_dual_mov_b32 v2, v7
	s_add_i32 s5, s6, s5
	s_mul_i32 s4, s22, s7
	s_delay_alu instid0(SALU_CYCLE_1)
	s_lshl_b64 s[10:11], s[4:5], 3
	s_branch .LBB8_4
.LBB8_2:                                ;   in Loop: Header=BB8_4 Depth=1
	s_or_b32 exec_lo, exec_lo, s6
	s_delay_alu instid0(VALU_DEP_2) | instskip(NEXT) | instid1(VALU_DEP_2)
	v_dual_mov_b32 v1, v10 :: v_dual_mov_b32 v2, v11
	v_mov_b32_e32 v3, v5
.LBB8_3:                                ;   in Loop: Header=BB8_4 Depth=1
	s_or_b32 exec_lo, exec_lo, s5
	s_add_u32 s12, s12, s7
	s_addc_u32 s13, s13, 0
	v_add_co_u32 v8, vcc_lo, v8, s10
	v_cmp_ge_i64_e64 s4, s[12:13], s[16:17]
	v_add_co_ci_u32_e32 v9, vcc_lo, s11, v9, vcc_lo
	s_delay_alu instid0(VALU_DEP_2)
	s_and_b32 vcc_lo, exec_lo, s4
	s_cbranch_vccnz .LBB8_54
.LBB8_4:                                ; =>This Inner Loop Header: Depth=1
	v_add_co_u32 v12, s4, v14, s12
	s_delay_alu instid0(VALU_DEP_1) | instskip(SKIP_2) | instid1(VALU_DEP_2)
	v_add_co_ci_u32_e64 v13, null, 0, s13, s4
	v_dual_mov_b32 v11, v7 :: v_dual_mov_b32 v10, v6
	s_mov_b32 s4, exec_lo
	v_cmpx_gt_i64_e64 s[16:17], v[12:13]
	s_cbranch_execz .LBB8_6
; %bb.5:                                ;   in Loop: Header=BB8_4 Depth=1
	global_load_b64 v[10:11], v[8:9], off offset:-4
	s_waitcnt vmcnt(0)
	v_cmp_gt_f32_e32 vcc_lo, 0, v10
	v_cndmask_b32_e64 v5, v10, -v10, vcc_lo
	v_cmp_gt_f32_e32 vcc_lo, 0, v11
	s_waitcnt lgkmcnt(0)
	v_cndmask_b32_e64 v22, v11, -v11, vcc_lo
	v_add_co_u32 v10, vcc_lo, v12, 1
	v_add_co_ci_u32_e32 v11, vcc_lo, 0, v13, vcc_lo
	s_delay_alu instid0(VALU_DEP_3)
	v_add_f32_e32 v22, v5, v22
.LBB8_6:                                ;   in Loop: Header=BB8_4 Depth=1
	s_or_b32 exec_lo, exec_lo, s4
	s_and_saveexec_b32 s4, s2
	s_cbranch_execz .LBB8_8
; %bb.7:                                ;   in Loop: Header=BB8_4 Depth=1
	v_mov_b32_e32 v5, v4
	ds_store_b64 v15, v[4:5]
	ds_store_b32 v15, v4 offset:8
.LBB8_8:                                ;   in Loop: Header=BB8_4 Depth=1
	s_or_b32 exec_lo, exec_lo, s4
	ds_bpermute_b32 v12, v16, v10
	ds_bpermute_b32 v13, v16, v11
	s_waitcnt lgkmcnt(2)
	ds_bpermute_b32 v23, v16, v22
	v_mov_b32_e32 v5, v22
	s_mov_b32 s5, exec_lo
	s_waitcnt lgkmcnt(0)
	s_barrier
	buffer_gl0_inv
	v_cmpx_ne_u64_e32 0, v[12:13]
	s_cbranch_execz .LBB8_12
; %bb.9:                                ;   in Loop: Header=BB8_4 Depth=1
	v_cmp_ne_u64_e32 vcc_lo, 0, v[10:11]
	v_cmp_nlt_f32_e64 s4, v22, v23
	s_delay_alu instid0(VALU_DEP_1) | instskip(NEXT) | instid1(SALU_CYCLE_1)
	s_and_b32 s4, vcc_lo, s4
	s_and_saveexec_b32 s6, s4
; %bb.10:                               ;   in Loop: Header=BB8_4 Depth=1
	v_cmp_lt_i64_e32 vcc_lo, v[12:13], v[10:11]
	v_cmp_eq_f32_e64 s4, v22, v23
	v_mov_b32_e32 v23, v22
	v_cndmask_b32_e32 v5, v11, v13, vcc_lo
	s_delay_alu instid0(VALU_DEP_3) | instskip(SKIP_1) | instid1(VALU_DEP_2)
	s_and_b32 vcc_lo, s4, vcc_lo
	v_cndmask_b32_e32 v12, v10, v12, vcc_lo
	v_cndmask_b32_e64 v13, v11, v5, s4
; %bb.11:                               ;   in Loop: Header=BB8_4 Depth=1
	s_or_b32 exec_lo, exec_lo, s6
	s_delay_alu instid0(VALU_DEP_2) | instskip(NEXT) | instid1(VALU_DEP_2)
	v_dual_mov_b32 v10, v12 :: v_dual_mov_b32 v5, v23
	v_dual_mov_b32 v22, v23 :: v_dual_mov_b32 v11, v13
.LBB8_12:                               ;   in Loop: Header=BB8_4 Depth=1
	s_or_b32 exec_lo, exec_lo, s5
	ds_bpermute_b32 v12, v17, v10
	ds_bpermute_b32 v13, v17, v11
	;; [unrolled: 1-line block ×3, first 2 shown]
	s_mov_b32 s5, exec_lo
	s_waitcnt lgkmcnt(1)
	v_cmpx_ne_u64_e32 0, v[12:13]
	s_cbranch_execz .LBB8_16
; %bb.13:                               ;   in Loop: Header=BB8_4 Depth=1
	v_cmp_ne_u64_e32 vcc_lo, 0, v[10:11]
	s_waitcnt lgkmcnt(0)
	v_cmp_nlt_f32_e64 s4, v5, v23
	v_mov_b32_e32 v24, v23
	s_delay_alu instid0(VALU_DEP_2) | instskip(NEXT) | instid1(SALU_CYCLE_1)
	s_and_b32 s4, vcc_lo, s4
	s_and_saveexec_b32 s6, s4
; %bb.14:                               ;   in Loop: Header=BB8_4 Depth=1
	v_cmp_lt_i64_e32 vcc_lo, v[12:13], v[10:11]
	v_cmp_eq_f32_e64 s4, v5, v23
	v_dual_mov_b32 v23, v22 :: v_dual_mov_b32 v24, v5
	v_cndmask_b32_e32 v13, v11, v13, vcc_lo
	s_delay_alu instid0(VALU_DEP_3) | instskip(SKIP_1) | instid1(VALU_DEP_2)
	s_and_b32 vcc_lo, s4, vcc_lo
	v_cndmask_b32_e32 v12, v10, v12, vcc_lo
	v_cndmask_b32_e64 v13, v11, v13, s4
; %bb.15:                               ;   in Loop: Header=BB8_4 Depth=1
	s_or_b32 exec_lo, exec_lo, s6
	s_delay_alu instid0(VALU_DEP_2) | instskip(NEXT) | instid1(VALU_DEP_2)
	v_mov_b32_e32 v10, v12
	v_dual_mov_b32 v22, v23 :: v_dual_mov_b32 v11, v13
	v_mov_b32_e32 v5, v24
.LBB8_16:                               ;   in Loop: Header=BB8_4 Depth=1
	s_or_b32 exec_lo, exec_lo, s5
	ds_bpermute_b32 v12, v18, v10
	ds_bpermute_b32 v13, v18, v11
	s_waitcnt lgkmcnt(2)
	ds_bpermute_b32 v23, v18, v22
	s_mov_b32 s5, exec_lo
	s_waitcnt lgkmcnt(1)
	v_cmpx_ne_u64_e32 0, v[12:13]
	s_cbranch_execz .LBB8_20
; %bb.17:                               ;   in Loop: Header=BB8_4 Depth=1
	v_cmp_ne_u64_e32 vcc_lo, 0, v[10:11]
	s_waitcnt lgkmcnt(0)
	v_cmp_nlt_f32_e64 s4, v5, v23
	v_mov_b32_e32 v24, v23
	s_delay_alu instid0(VALU_DEP_2) | instskip(NEXT) | instid1(SALU_CYCLE_1)
	s_and_b32 s4, vcc_lo, s4
	s_and_saveexec_b32 s6, s4
; %bb.18:                               ;   in Loop: Header=BB8_4 Depth=1
	v_cmp_lt_i64_e32 vcc_lo, v[12:13], v[10:11]
	v_cmp_eq_f32_e64 s4, v5, v23
	v_dual_mov_b32 v23, v22 :: v_dual_mov_b32 v24, v5
	v_cndmask_b32_e32 v13, v11, v13, vcc_lo
	s_delay_alu instid0(VALU_DEP_3) | instskip(SKIP_1) | instid1(VALU_DEP_2)
	s_and_b32 vcc_lo, s4, vcc_lo
	v_cndmask_b32_e32 v12, v10, v12, vcc_lo
	v_cndmask_b32_e64 v13, v11, v13, s4
; %bb.19:                               ;   in Loop: Header=BB8_4 Depth=1
	s_or_b32 exec_lo, exec_lo, s6
	s_delay_alu instid0(VALU_DEP_2) | instskip(NEXT) | instid1(VALU_DEP_2)
	v_mov_b32_e32 v10, v12
	v_dual_mov_b32 v22, v23 :: v_dual_mov_b32 v11, v13
	v_mov_b32_e32 v5, v24
.LBB8_20:                               ;   in Loop: Header=BB8_4 Depth=1
	s_or_b32 exec_lo, exec_lo, s5
	ds_bpermute_b32 v12, v19, v10
	ds_bpermute_b32 v13, v19, v11
	s_waitcnt lgkmcnt(2)
	ds_bpermute_b32 v23, v19, v22
	s_mov_b32 s5, exec_lo
	s_waitcnt lgkmcnt(1)
	v_cmpx_ne_u64_e32 0, v[12:13]
	s_cbranch_execz .LBB8_24
; %bb.21:                               ;   in Loop: Header=BB8_4 Depth=1
	v_cmp_ne_u64_e32 vcc_lo, 0, v[10:11]
	s_waitcnt lgkmcnt(0)
	v_cmp_nlt_f32_e64 s4, v5, v23
	v_mov_b32_e32 v24, v23
	s_delay_alu instid0(VALU_DEP_2) | instskip(NEXT) | instid1(SALU_CYCLE_1)
	s_and_b32 s4, vcc_lo, s4
	s_and_saveexec_b32 s6, s4
; %bb.22:                               ;   in Loop: Header=BB8_4 Depth=1
	v_cmp_lt_i64_e32 vcc_lo, v[12:13], v[10:11]
	v_cmp_eq_f32_e64 s4, v5, v23
	v_dual_mov_b32 v23, v22 :: v_dual_mov_b32 v24, v5
	v_cndmask_b32_e32 v13, v11, v13, vcc_lo
	s_delay_alu instid0(VALU_DEP_3) | instskip(SKIP_1) | instid1(VALU_DEP_2)
	s_and_b32 vcc_lo, s4, vcc_lo
	v_cndmask_b32_e32 v12, v10, v12, vcc_lo
	v_cndmask_b32_e64 v13, v11, v13, s4
; %bb.23:                               ;   in Loop: Header=BB8_4 Depth=1
	s_or_b32 exec_lo, exec_lo, s6
	s_delay_alu instid0(VALU_DEP_2) | instskip(NEXT) | instid1(VALU_DEP_2)
	v_mov_b32_e32 v10, v12
	v_dual_mov_b32 v22, v23 :: v_dual_mov_b32 v11, v13
	v_mov_b32_e32 v5, v24
.LBB8_24:                               ;   in Loop: Header=BB8_4 Depth=1
	s_or_b32 exec_lo, exec_lo, s5
	ds_bpermute_b32 v12, v20, v10
	ds_bpermute_b32 v13, v20, v11
	;; [unrolled: 1-line block ×3, first 2 shown]
	s_mov_b32 s15, exec_lo
	s_waitcnt lgkmcnt(1)
	v_cmpx_ne_u64_e32 0, v[12:13]
	s_cbranch_execz .LBB8_26
; %bb.25:                               ;   in Loop: Header=BB8_4 Depth=1
	v_cmp_lt_i64_e32 vcc_lo, v[12:13], v[10:11]
	s_waitcnt lgkmcnt(0)
	v_cmp_eq_f32_e64 s4, v5, v22
	v_cmp_eq_u64_e64 s5, 0, v[10:11]
	v_cmp_lt_f32_e64 s6, v5, v22
	s_delay_alu instid0(VALU_DEP_3) | instskip(NEXT) | instid1(VALU_DEP_1)
	s_and_b32 vcc_lo, s4, vcc_lo
	s_or_b32 s4, s5, s6
	v_cndmask_b32_e32 v11, v11, v13, vcc_lo
	s_or_b32 vcc_lo, s4, vcc_lo
	v_cndmask_b32_e64 v5, v5, v22, s4
	v_cndmask_b32_e32 v10, v10, v12, vcc_lo
	s_delay_alu instid0(VALU_DEP_3)
	v_cndmask_b32_e64 v11, v11, v13, s4
.LBB8_26:                               ;   in Loop: Header=BB8_4 Depth=1
	s_or_b32 exec_lo, exec_lo, s15
	s_and_saveexec_b32 s4, s3
	s_cbranch_execz .LBB8_28
; %bb.27:                               ;   in Loop: Header=BB8_4 Depth=1
	ds_store_b64 v21, v[10:11]
	ds_store_b32 v21, v5 offset:8
.LBB8_28:                               ;   in Loop: Header=BB8_4 Depth=1
	s_or_b32 exec_lo, exec_lo, s4
	v_mov_b32_e32 v10, 0
	s_waitcnt lgkmcnt(0)
	v_dual_mov_b32 v11, 0 :: v_dual_mov_b32 v22, 0
	s_barrier
	buffer_gl0_inv
	s_and_saveexec_b32 s4, s2
	s_cbranch_execz .LBB8_30
; %bb.29:                               ;   in Loop: Header=BB8_4 Depth=1
	ds_load_b64 v[10:11], v15
	ds_load_b32 v22, v15 offset:8
.LBB8_30:                               ;   in Loop: Header=BB8_4 Depth=1
	s_or_b32 exec_lo, exec_lo, s4
	s_and_saveexec_b32 s15, s2
	s_cbranch_execz .LBB8_50
; %bb.31:                               ;   in Loop: Header=BB8_4 Depth=1
	s_waitcnt lgkmcnt(1)
	ds_bpermute_b32 v12, v16, v10
	ds_bpermute_b32 v13, v16, v11
	s_waitcnt lgkmcnt(2)
	ds_bpermute_b32 v23, v16, v22
	v_mov_b32_e32 v5, v22
	s_mov_b32 s5, exec_lo
	s_waitcnt lgkmcnt(1)
	v_cmpx_ne_u64_e32 0, v[12:13]
	s_cbranch_execz .LBB8_35
; %bb.32:                               ;   in Loop: Header=BB8_4 Depth=1
	v_cmp_ne_u64_e32 vcc_lo, 0, v[10:11]
	s_waitcnt lgkmcnt(0)
	v_cmp_nlt_f32_e64 s4, v22, v23
	s_delay_alu instid0(VALU_DEP_1) | instskip(NEXT) | instid1(SALU_CYCLE_1)
	s_and_b32 s4, vcc_lo, s4
	s_and_saveexec_b32 s6, s4
; %bb.33:                               ;   in Loop: Header=BB8_4 Depth=1
	v_cmp_lt_i64_e32 vcc_lo, v[12:13], v[10:11]
	v_cmp_eq_f32_e64 s4, v22, v23
	v_mov_b32_e32 v23, v22
	v_cndmask_b32_e32 v5, v11, v13, vcc_lo
	s_delay_alu instid0(VALU_DEP_3) | instskip(SKIP_1) | instid1(VALU_DEP_2)
	s_and_b32 vcc_lo, s4, vcc_lo
	v_cndmask_b32_e32 v12, v10, v12, vcc_lo
	v_cndmask_b32_e64 v13, v11, v5, s4
; %bb.34:                               ;   in Loop: Header=BB8_4 Depth=1
	s_or_b32 exec_lo, exec_lo, s6
	s_delay_alu instid0(VALU_DEP_2) | instskip(NEXT) | instid1(VALU_DEP_2)
	v_dual_mov_b32 v10, v12 :: v_dual_mov_b32 v5, v23
	v_dual_mov_b32 v22, v23 :: v_dual_mov_b32 v11, v13
.LBB8_35:                               ;   in Loop: Header=BB8_4 Depth=1
	s_or_b32 exec_lo, exec_lo, s5
	ds_bpermute_b32 v12, v17, v10
	ds_bpermute_b32 v13, v17, v11
	s_waitcnt lgkmcnt(2)
	ds_bpermute_b32 v23, v17, v22
	s_mov_b32 s5, exec_lo
	s_waitcnt lgkmcnt(1)
	v_cmpx_ne_u64_e32 0, v[12:13]
	s_cbranch_execz .LBB8_39
; %bb.36:                               ;   in Loop: Header=BB8_4 Depth=1
	v_cmp_ne_u64_e32 vcc_lo, 0, v[10:11]
	s_waitcnt lgkmcnt(0)
	v_cmp_nlt_f32_e64 s4, v5, v23
	v_mov_b32_e32 v24, v23
	s_delay_alu instid0(VALU_DEP_2) | instskip(NEXT) | instid1(SALU_CYCLE_1)
	s_and_b32 s4, vcc_lo, s4
	s_and_saveexec_b32 s6, s4
; %bb.37:                               ;   in Loop: Header=BB8_4 Depth=1
	v_cmp_lt_i64_e32 vcc_lo, v[12:13], v[10:11]
	v_cmp_eq_f32_e64 s4, v5, v23
	v_dual_mov_b32 v23, v22 :: v_dual_mov_b32 v24, v5
	v_cndmask_b32_e32 v13, v11, v13, vcc_lo
	s_delay_alu instid0(VALU_DEP_3) | instskip(SKIP_1) | instid1(VALU_DEP_2)
	s_and_b32 vcc_lo, s4, vcc_lo
	v_cndmask_b32_e32 v12, v10, v12, vcc_lo
	v_cndmask_b32_e64 v13, v11, v13, s4
; %bb.38:                               ;   in Loop: Header=BB8_4 Depth=1
	s_or_b32 exec_lo, exec_lo, s6
	s_delay_alu instid0(VALU_DEP_2) | instskip(NEXT) | instid1(VALU_DEP_2)
	v_mov_b32_e32 v10, v12
	v_dual_mov_b32 v22, v23 :: v_dual_mov_b32 v11, v13
	v_mov_b32_e32 v5, v24
.LBB8_39:                               ;   in Loop: Header=BB8_4 Depth=1
	s_or_b32 exec_lo, exec_lo, s5
	ds_bpermute_b32 v12, v18, v10
	ds_bpermute_b32 v13, v18, v11
	s_waitcnt lgkmcnt(2)
	ds_bpermute_b32 v23, v18, v22
	s_mov_b32 s5, exec_lo
	s_waitcnt lgkmcnt(1)
	v_cmpx_ne_u64_e32 0, v[12:13]
	s_cbranch_execz .LBB8_43
; %bb.40:                               ;   in Loop: Header=BB8_4 Depth=1
	v_cmp_ne_u64_e32 vcc_lo, 0, v[10:11]
	s_waitcnt lgkmcnt(0)
	v_cmp_nlt_f32_e64 s4, v5, v23
	v_mov_b32_e32 v24, v23
	s_delay_alu instid0(VALU_DEP_2) | instskip(NEXT) | instid1(SALU_CYCLE_1)
	s_and_b32 s4, vcc_lo, s4
	s_and_saveexec_b32 s6, s4
; %bb.41:                               ;   in Loop: Header=BB8_4 Depth=1
	v_cmp_lt_i64_e32 vcc_lo, v[12:13], v[10:11]
	v_cmp_eq_f32_e64 s4, v5, v23
	v_dual_mov_b32 v23, v22 :: v_dual_mov_b32 v24, v5
	v_cndmask_b32_e32 v13, v11, v13, vcc_lo
	s_delay_alu instid0(VALU_DEP_3) | instskip(SKIP_1) | instid1(VALU_DEP_2)
	s_and_b32 vcc_lo, s4, vcc_lo
	v_cndmask_b32_e32 v12, v10, v12, vcc_lo
	v_cndmask_b32_e64 v13, v11, v13, s4
; %bb.42:                               ;   in Loop: Header=BB8_4 Depth=1
	s_or_b32 exec_lo, exec_lo, s6
	s_delay_alu instid0(VALU_DEP_2) | instskip(NEXT) | instid1(VALU_DEP_2)
	v_mov_b32_e32 v10, v12
	v_dual_mov_b32 v22, v23 :: v_dual_mov_b32 v11, v13
	v_mov_b32_e32 v5, v24
.LBB8_43:                               ;   in Loop: Header=BB8_4 Depth=1
	;; [unrolled: 33-line block ×3, first 2 shown]
	s_or_b32 exec_lo, exec_lo, s5
	ds_bpermute_b32 v12, v20, v10
	ds_bpermute_b32 v13, v20, v11
	;; [unrolled: 1-line block ×3, first 2 shown]
	s_mov_b32 s18, exec_lo
	s_waitcnt lgkmcnt(1)
	v_cmpx_ne_u64_e32 0, v[12:13]
	s_cbranch_execz .LBB8_49
; %bb.48:                               ;   in Loop: Header=BB8_4 Depth=1
	v_cmp_lt_i64_e32 vcc_lo, v[12:13], v[10:11]
	s_waitcnt lgkmcnt(0)
	v_cmp_eq_f32_e64 s4, v5, v22
	v_cmp_eq_u64_e64 s5, 0, v[10:11]
	v_cmp_lt_f32_e64 s6, v5, v22
	s_delay_alu instid0(VALU_DEP_3) | instskip(NEXT) | instid1(VALU_DEP_1)
	s_and_b32 vcc_lo, s4, vcc_lo
	s_or_b32 s4, s5, s6
	v_cndmask_b32_e32 v11, v11, v13, vcc_lo
	s_or_b32 vcc_lo, s4, vcc_lo
	v_cndmask_b32_e64 v5, v5, v22, s4
	v_cndmask_b32_e32 v10, v10, v12, vcc_lo
	s_delay_alu instid0(VALU_DEP_3)
	v_cndmask_b32_e64 v11, v11, v13, s4
.LBB8_49:                               ;   in Loop: Header=BB8_4 Depth=1
	s_or_b32 exec_lo, exec_lo, s18
	s_waitcnt lgkmcnt(0)
	v_mov_b32_e32 v22, v5
.LBB8_50:                               ;   in Loop: Header=BB8_4 Depth=1
	s_or_b32 exec_lo, exec_lo, s15
	s_waitcnt lgkmcnt(1)
	v_cmp_ne_u64_e32 vcc_lo, 0, v[10:11]
	s_and_b32 s4, s9, vcc_lo
	s_delay_alu instid0(SALU_CYCLE_1)
	s_and_saveexec_b32 s5, s4
	s_cbranch_execz .LBB8_3
; %bb.51:                               ;   in Loop: Header=BB8_4 Depth=1
	v_cmp_ne_u64_e32 vcc_lo, 0, v[1:2]
	s_waitcnt lgkmcnt(0)
	v_cmp_ngt_f32_e64 s4, v22, v3
	v_mov_b32_e32 v5, v22
	s_delay_alu instid0(VALU_DEP_2) | instskip(NEXT) | instid1(SALU_CYCLE_1)
	s_and_b32 s4, vcc_lo, s4
	s_and_saveexec_b32 s6, s4
	s_cbranch_execz .LBB8_2
; %bb.52:                               ;   in Loop: Header=BB8_4 Depth=1
	v_cmp_lt_i64_e32 vcc_lo, v[10:11], v[1:2]
	v_cmp_eq_f32_e64 s4, v3, v22
	v_cndmask_b32_e32 v5, v2, v11, vcc_lo
	s_delay_alu instid0(VALU_DEP_2) | instskip(SKIP_1) | instid1(VALU_DEP_2)
	s_and_b32 vcc_lo, s4, vcc_lo
	v_cndmask_b32_e32 v10, v1, v10, vcc_lo
	v_cndmask_b32_e64 v11, v2, v5, s4
	v_mov_b32_e32 v5, v3
	s_branch .LBB8_2
.LBB8_53:
	v_mov_b32_e32 v1, 0
	v_mov_b32_e32 v2, 0
.LBB8_54:
	s_mov_b32 s15, 0
	s_mov_b32 s2, exec_lo
	v_cmpx_eq_u32_e32 0, v0
	s_cbranch_execz .LBB8_56
; %bb.55:
	s_clause 0x1
	s_load_b32 s2, s[0:1], 0x30
	s_load_b64 s[0:1], s[0:1], 0x28
	v_mov_b32_e32 v0, 0
	s_waitcnt lgkmcnt(0)
	s_mul_hi_u32 s3, s2, s8
	s_mul_i32 s2, s2, s8
	s_delay_alu instid0(SALU_CYCLE_1) | instskip(NEXT) | instid1(SALU_CYCLE_1)
	s_lshl_b64 s[2:3], s[2:3], 4
	s_add_u32 s2, s0, s2
	s_addc_u32 s3, s1, s3
	s_lshl_b64 s[0:1], s[14:15], 4
	s_delay_alu instid0(SALU_CYCLE_1)
	s_add_u32 s0, s2, s0
	s_addc_u32 s1, s3, s1
	global_store_b96 v0, v[1:3], s[0:1]
.LBB8_56:
	s_nop 0
	s_sendmsg sendmsg(MSG_DEALLOC_VGPRS)
	s_endpgm
	.section	.rodata,"a",@progbits
	.p2align	6, 0x0
	.amdhsa_kernel _ZL35rocblas_iamax_iamin_kernel_part1_64ILi1024E26rocblas_fetch_amax_amin_64IfE22rocblas_reduce_amax_64PKPK19rocblas_complex_numIfE24rocblas_index_64_value_tIfEEvlT2_lllPT3_
		.amdhsa_group_segment_fixed_size 512
		.amdhsa_private_segment_fixed_size 0
		.amdhsa_kernarg_size 304
		.amdhsa_user_sgpr_count 14
		.amdhsa_user_sgpr_dispatch_ptr 0
		.amdhsa_user_sgpr_queue_ptr 0
		.amdhsa_user_sgpr_kernarg_segment_ptr 1
		.amdhsa_user_sgpr_dispatch_id 0
		.amdhsa_user_sgpr_private_segment_size 0
		.amdhsa_wavefront_size32 1
		.amdhsa_uses_dynamic_stack 0
		.amdhsa_enable_private_segment 0
		.amdhsa_system_sgpr_workgroup_id_x 1
		.amdhsa_system_sgpr_workgroup_id_y 0
		.amdhsa_system_sgpr_workgroup_id_z 1
		.amdhsa_system_sgpr_workgroup_info 0
		.amdhsa_system_vgpr_workitem_id 0
		.amdhsa_next_free_vgpr 25
		.amdhsa_next_free_sgpr 24
		.amdhsa_reserve_vcc 1
		.amdhsa_float_round_mode_32 0
		.amdhsa_float_round_mode_16_64 0
		.amdhsa_float_denorm_mode_32 3
		.amdhsa_float_denorm_mode_16_64 3
		.amdhsa_dx10_clamp 1
		.amdhsa_ieee_mode 1
		.amdhsa_fp16_overflow 0
		.amdhsa_workgroup_processor_mode 1
		.amdhsa_memory_ordered 1
		.amdhsa_forward_progress 0
		.amdhsa_shared_vgpr_count 0
		.amdhsa_exception_fp_ieee_invalid_op 0
		.amdhsa_exception_fp_denorm_src 0
		.amdhsa_exception_fp_ieee_div_zero 0
		.amdhsa_exception_fp_ieee_overflow 0
		.amdhsa_exception_fp_ieee_underflow 0
		.amdhsa_exception_fp_ieee_inexact 0
		.amdhsa_exception_int_div_zero 0
	.end_amdhsa_kernel
	.section	.text._ZL35rocblas_iamax_iamin_kernel_part1_64ILi1024E26rocblas_fetch_amax_amin_64IfE22rocblas_reduce_amax_64PKPK19rocblas_complex_numIfE24rocblas_index_64_value_tIfEEvlT2_lllPT3_,"axG",@progbits,_ZL35rocblas_iamax_iamin_kernel_part1_64ILi1024E26rocblas_fetch_amax_amin_64IfE22rocblas_reduce_amax_64PKPK19rocblas_complex_numIfE24rocblas_index_64_value_tIfEEvlT2_lllPT3_,comdat
.Lfunc_end8:
	.size	_ZL35rocblas_iamax_iamin_kernel_part1_64ILi1024E26rocblas_fetch_amax_amin_64IfE22rocblas_reduce_amax_64PKPK19rocblas_complex_numIfE24rocblas_index_64_value_tIfEEvlT2_lllPT3_, .Lfunc_end8-_ZL35rocblas_iamax_iamin_kernel_part1_64ILi1024E26rocblas_fetch_amax_amin_64IfE22rocblas_reduce_amax_64PKPK19rocblas_complex_numIfE24rocblas_index_64_value_tIfEEvlT2_lllPT3_
                                        ; -- End function
	.section	.AMDGPU.csdata,"",@progbits
; Kernel info:
; codeLenInByte = 2332
; NumSgprs: 26
; NumVgprs: 25
; ScratchSize: 0
; MemoryBound: 0
; FloatMode: 240
; IeeeMode: 1
; LDSByteSize: 512 bytes/workgroup (compile time only)
; SGPRBlocks: 3
; VGPRBlocks: 3
; NumSGPRsForWavesPerEU: 26
; NumVGPRsForWavesPerEU: 25
; Occupancy: 16
; WaveLimiterHint : 0
; COMPUTE_PGM_RSRC2:SCRATCH_EN: 0
; COMPUTE_PGM_RSRC2:USER_SGPR: 14
; COMPUTE_PGM_RSRC2:TRAP_HANDLER: 0
; COMPUTE_PGM_RSRC2:TGID_X_EN: 1
; COMPUTE_PGM_RSRC2:TGID_Y_EN: 0
; COMPUTE_PGM_RSRC2:TGID_Z_EN: 1
; COMPUTE_PGM_RSRC2:TIDIG_COMP_CNT: 0
	.section	.text._ZL35rocblas_iamax_iamin_kernel_part1_64ILi1024E26rocblas_fetch_amax_amin_64IdE22rocblas_reduce_amax_64PKPK19rocblas_complex_numIdE24rocblas_index_64_value_tIdEEvlT2_lllPT3_,"axG",@progbits,_ZL35rocblas_iamax_iamin_kernel_part1_64ILi1024E26rocblas_fetch_amax_amin_64IdE22rocblas_reduce_amax_64PKPK19rocblas_complex_numIdE24rocblas_index_64_value_tIdEEvlT2_lllPT3_,comdat
	.globl	_ZL35rocblas_iamax_iamin_kernel_part1_64ILi1024E26rocblas_fetch_amax_amin_64IdE22rocblas_reduce_amax_64PKPK19rocblas_complex_numIdE24rocblas_index_64_value_tIdEEvlT2_lllPT3_ ; -- Begin function _ZL35rocblas_iamax_iamin_kernel_part1_64ILi1024E26rocblas_fetch_amax_amin_64IdE22rocblas_reduce_amax_64PKPK19rocblas_complex_numIdE24rocblas_index_64_value_tIdEEvlT2_lllPT3_
	.p2align	8
	.type	_ZL35rocblas_iamax_iamin_kernel_part1_64ILi1024E26rocblas_fetch_amax_amin_64IdE22rocblas_reduce_amax_64PKPK19rocblas_complex_numIdE24rocblas_index_64_value_tIdEEvlT2_lllPT3_,@function
_ZL35rocblas_iamax_iamin_kernel_part1_64ILi1024E26rocblas_fetch_amax_amin_64IdE22rocblas_reduce_amax_64PKPK19rocblas_complex_numIdE24rocblas_index_64_value_tIdEEvlT2_lllPT3_: ; @_ZL35rocblas_iamax_iamin_kernel_part1_64ILi1024E26rocblas_fetch_amax_amin_64IdE22rocblas_reduce_amax_64PKPK19rocblas_complex_numIdE24rocblas_index_64_value_tIdEEvlT2_lllPT3_
; %bb.0:
	s_load_b256 s[16:23], s[0:1], 0x0
	s_mov_b32 s8, s15
	s_mov_b32 s9, 0
	s_waitcnt lgkmcnt(0)
	v_cmp_lt_i64_e64 s2, s[16:17], 1
	s_delay_alu instid0(VALU_DEP_1)
	s_and_b32 vcc_lo, exec_lo, s2
	s_cbranch_vccnz .LBB9_53
; %bb.1:
	v_mbcnt_lo_u32_b32 v5, -1, 0
	v_lshl_or_b32 v23, s14, 10, v0
	s_lshl_b64 s[2:3], s[8:9], 3
	s_load_b32 s6, s[0:1], 0x30
	s_add_u32 s2, s18, s2
	v_cmp_gt_u32_e32 vcc_lo, 16, v5
	s_addc_u32 s3, s19, s3
	s_lshl_b64 s[10:11], s[20:21], 4
	s_load_b64 s[4:5], s[2:3], 0x0
	v_and_b32_e32 v6, 31, v0
	v_cndmask_b32_e64 v1, 0, 1, vcc_lo
	v_cmp_gt_u32_e32 vcc_lo, 24, v5
	v_cmp_gt_u32_e64 s2, 32, v0
	s_mov_b64 s[12:13], 0
	v_mov_b32_e32 v15, 0
	v_dual_mov_b32 v16, 0 :: v_dual_lshlrev_b32 v3, 4, v1
	v_cndmask_b32_e64 v4, 0, 1, vcc_lo
	v_cmp_gt_u32_e32 vcc_lo, 28, v5
	v_mad_u64_u32 v[1:2], null, s22, v23, 0
	s_delay_alu instid0(VALU_DEP_4) | instskip(NEXT) | instid1(VALU_DEP_4)
	v_add_lshl_u32 v25, v3, v5, 2
	v_lshlrev_b32_e32 v9, 3, v4
	v_cndmask_b32_e64 v7, 0, 1, vcc_lo
	v_cmp_gt_u32_e32 vcc_lo, 30, v5
	s_waitcnt lgkmcnt(0)
	s_lshl_b32 s7, s6, 10
	v_mad_u64_u32 v[3:4], null, s23, v23, v[2:3]
	v_cndmask_b32_e64 v8, 0, 1, vcc_lo
	v_cmp_ne_u32_e32 vcc_lo, 31, v5
	v_lshlrev_b32_e32 v7, 2, v7
	s_add_u32 s4, s4, s10
	s_addc_u32 s5, s5, s11
	v_lshlrev_b32_e32 v8, 1, v8
	v_add_co_ci_u32_e32 v2, vcc_lo, 0, v5, vcc_lo
	v_add_lshl_u32 v27, v7, v5, 2
	v_lshrrev_b32_e32 v4, 1, v0
	s_delay_alu instid0(VALU_DEP_4) | instskip(NEXT) | instid1(VALU_DEP_4)
	v_add_lshl_u32 v28, v8, v5, 2
	v_dual_mov_b32 v2, v3 :: v_dual_lshlrev_b32 v29, 2, v2
	v_add_lshl_u32 v26, v9, v5, 2
	v_dual_mov_b32 v5, 0 :: v_dual_lshlrev_b32 v24, 4, v6
	v_cmp_ne_u32_e32 vcc_lo, 0, v0
	s_delay_alu instid0(VALU_DEP_4) | instskip(SKIP_4) | instid1(VALU_DEP_3)
	v_lshlrev_b64 v[1:2], 4, v[1:2]
	s_mul_hi_u32 s6, s22, s7
	v_cmp_eq_u32_e64 s3, 0, v6
	v_and_b32_e32 v30, 0x1f0, v4
	s_xor_b32 s9, vcc_lo, -1
                                        ; implicit-def: $vgpr9_vgpr10
	v_add_co_u32 v1, s4, s4, v1
	s_delay_alu instid0(VALU_DEP_1) | instskip(SKIP_1) | instid1(VALU_DEP_2)
	v_add_co_ci_u32_e64 v2, s4, s5, v2, s4
	s_mul_i32 s5, s23, s7
	v_add_co_u32 v17, s4, v1, 8
	s_delay_alu instid0(VALU_DEP_1) | instskip(SKIP_3) | instid1(SALU_CYCLE_1)
	v_add_co_ci_u32_e64 v18, s4, 0, v2, s4
	v_dual_mov_b32 v1, v15 :: v_dual_mov_b32 v2, v16
	s_add_i32 s5, s6, s5
	s_mul_i32 s4, s22, s7
	s_lshl_b64 s[10:11], s[4:5], 4
	s_branch .LBB9_4
.LBB9_2:                                ;   in Loop: Header=BB9_4 Depth=1
	s_or_b32 exec_lo, exec_lo, s6
	s_delay_alu instid0(VALU_DEP_1)
	v_dual_mov_b32 v1, v7 :: v_dual_mov_b32 v2, v8
	v_dual_mov_b32 v3, v11 :: v_dual_mov_b32 v4, v12
.LBB9_3:                                ;   in Loop: Header=BB9_4 Depth=1
	s_or_b32 exec_lo, exec_lo, s5
	s_add_u32 s12, s12, s7
	s_addc_u32 s13, s13, 0
	v_add_co_u32 v17, vcc_lo, v17, s10
	v_cmp_ge_i64_e64 s4, s[12:13], s[16:17]
	v_add_co_ci_u32_e32 v18, vcc_lo, s11, v18, vcc_lo
	s_delay_alu instid0(VALU_DEP_2)
	s_and_b32 vcc_lo, exec_lo, s4
	s_cbranch_vccnz .LBB9_54
.LBB9_4:                                ; =>This Inner Loop Header: Depth=1
	v_add_co_u32 v6, s4, v23, s12
	s_delay_alu instid0(VALU_DEP_1) | instskip(SKIP_2) | instid1(VALU_DEP_2)
	v_add_co_ci_u32_e64 v7, null, 0, s13, s4
	v_dual_mov_b32 v11, v15 :: v_dual_mov_b32 v12, v16
	s_mov_b32 s4, exec_lo
	v_cmpx_gt_i64_e64 s[16:17], v[6:7]
	s_cbranch_execz .LBB9_6
; %bb.5:                                ;   in Loop: Header=BB9_4 Depth=1
	global_load_b128 v[8:11], v[17:18], off offset:-8
	s_waitcnt vmcnt(0)
	v_cmp_gt_f64_e32 vcc_lo, 0, v[8:9]
	v_xor_b32_e32 v12, 0x80000000, v9
	v_xor_b32_e32 v13, 0x80000000, v11
	s_delay_alu instid0(VALU_DEP_2) | instskip(SKIP_1) | instid1(VALU_DEP_3)
	v_cndmask_b32_e32 v9, v9, v12, vcc_lo
	v_cmp_gt_f64_e32 vcc_lo, 0, v[10:11]
	v_cndmask_b32_e32 v11, v11, v13, vcc_lo
	s_delay_alu instid0(VALU_DEP_1)
	v_add_f64 v[9:10], v[8:9], v[10:11]
	v_add_co_u32 v11, vcc_lo, v6, 1
	v_add_co_ci_u32_e32 v12, vcc_lo, 0, v7, vcc_lo
.LBB9_6:                                ;   in Loop: Header=BB9_4 Depth=1
	s_or_b32 exec_lo, exec_lo, s4
	s_and_saveexec_b32 s4, s2
	s_cbranch_execz .LBB9_8
; %bb.7:                                ;   in Loop: Header=BB9_4 Depth=1
	v_mov_b32_e32 v6, v5
	v_mov_b32_e32 v7, v5
	;; [unrolled: 1-line block ×3, first 2 shown]
	ds_store_b128 v24, v[5:8]
.LBB9_8:                                ;   in Loop: Header=BB9_4 Depth=1
	s_or_b32 exec_lo, exec_lo, s4
	ds_bpermute_b32 v6, v25, v11
	ds_bpermute_b32 v7, v25, v12
	;; [unrolled: 1-line block ×4, first 2 shown]
	v_dual_mov_b32 v14, v10 :: v_dual_mov_b32 v13, v9
	s_mov_b32 s5, exec_lo
	s_waitcnt lgkmcnt(0)
	s_barrier
	buffer_gl0_inv
	v_cmpx_ne_u64_e32 0, v[6:7]
	s_cbranch_execz .LBB9_12
; %bb.9:                                ;   in Loop: Header=BB9_4 Depth=1
	v_cmp_nlt_f64_e32 vcc_lo, v[9:10], v[19:20]
	v_cmp_ne_u64_e64 s4, 0, v[11:12]
	v_dual_mov_b32 v13, v19 :: v_dual_mov_b32 v14, v20
	s_delay_alu instid0(VALU_DEP_2) | instskip(NEXT) | instid1(SALU_CYCLE_1)
	s_and_b32 s4, s4, vcc_lo
	s_and_saveexec_b32 s6, s4
; %bb.10:                               ;   in Loop: Header=BB9_4 Depth=1
	v_cmp_eq_f64_e64 s4, v[9:10], v[19:20]
	v_cmp_lt_i64_e32 vcc_lo, v[6:7], v[11:12]
	v_dual_mov_b32 v19, v9 :: v_dual_mov_b32 v20, v10
	v_dual_mov_b32 v14, v10 :: v_dual_cndmask_b32 v7, v12, v7
	s_delay_alu instid0(VALU_DEP_4) | instskip(SKIP_1) | instid1(VALU_DEP_2)
	s_and_b32 vcc_lo, s4, vcc_lo
	v_dual_mov_b32 v13, v9 :: v_dual_cndmask_b32 v6, v11, v6
	v_cndmask_b32_e64 v7, v12, v7, s4
; %bb.11:                               ;   in Loop: Header=BB9_4 Depth=1
	s_or_b32 exec_lo, exec_lo, s6
	v_dual_mov_b32 v10, v20 :: v_dual_mov_b32 v9, v19
	s_delay_alu instid0(VALU_DEP_2)
	v_dual_mov_b32 v12, v7 :: v_dual_mov_b32 v11, v6
.LBB9_12:                               ;   in Loop: Header=BB9_4 Depth=1
	s_or_b32 exec_lo, exec_lo, s5
	ds_bpermute_b32 v6, v26, v11
	ds_bpermute_b32 v7, v26, v12
	;; [unrolled: 1-line block ×4, first 2 shown]
	s_mov_b32 s5, exec_lo
	s_waitcnt lgkmcnt(2)
	v_cmpx_ne_u64_e32 0, v[6:7]
	s_cbranch_execz .LBB9_16
; %bb.13:                               ;   in Loop: Header=BB9_4 Depth=1
	s_waitcnt lgkmcnt(0)
	v_cmp_nlt_f64_e32 vcc_lo, v[13:14], v[19:20]
	v_cmp_ne_u64_e64 s4, 0, v[11:12]
	v_dual_mov_b32 v22, v20 :: v_dual_mov_b32 v21, v19
	s_delay_alu instid0(VALU_DEP_2) | instskip(NEXT) | instid1(SALU_CYCLE_1)
	s_and_b32 s4, s4, vcc_lo
	s_and_saveexec_b32 s6, s4
; %bb.14:                               ;   in Loop: Header=BB9_4 Depth=1
	v_cmp_eq_f64_e64 s4, v[13:14], v[19:20]
	v_cmp_lt_i64_e32 vcc_lo, v[6:7], v[11:12]
	v_dual_mov_b32 v19, v9 :: v_dual_mov_b32 v20, v10
	v_dual_mov_b32 v22, v14 :: v_dual_cndmask_b32 v7, v12, v7
	s_delay_alu instid0(VALU_DEP_4) | instskip(SKIP_1) | instid1(VALU_DEP_2)
	s_and_b32 vcc_lo, s4, vcc_lo
	v_dual_mov_b32 v21, v13 :: v_dual_cndmask_b32 v6, v11, v6
	v_cndmask_b32_e64 v7, v12, v7, s4
; %bb.15:                               ;   in Loop: Header=BB9_4 Depth=1
	s_or_b32 exec_lo, exec_lo, s6
	v_dual_mov_b32 v10, v20 :: v_dual_mov_b32 v9, v19
	s_delay_alu instid0(VALU_DEP_2)
	v_dual_mov_b32 v12, v7 :: v_dual_mov_b32 v11, v6
	v_dual_mov_b32 v13, v21 :: v_dual_mov_b32 v14, v22
.LBB9_16:                               ;   in Loop: Header=BB9_4 Depth=1
	s_or_b32 exec_lo, exec_lo, s5
	ds_bpermute_b32 v6, v27, v11
	ds_bpermute_b32 v7, v27, v12
	s_waitcnt lgkmcnt(3)
	ds_bpermute_b32 v19, v27, v9
	s_waitcnt lgkmcnt(3)
	ds_bpermute_b32 v20, v27, v10
	s_mov_b32 s5, exec_lo
	s_waitcnt lgkmcnt(2)
	v_cmpx_ne_u64_e32 0, v[6:7]
	s_cbranch_execz .LBB9_20
; %bb.17:                               ;   in Loop: Header=BB9_4 Depth=1
	s_waitcnt lgkmcnt(0)
	v_cmp_nlt_f64_e32 vcc_lo, v[13:14], v[19:20]
	v_cmp_ne_u64_e64 s4, 0, v[11:12]
	v_dual_mov_b32 v22, v20 :: v_dual_mov_b32 v21, v19
	s_delay_alu instid0(VALU_DEP_2) | instskip(NEXT) | instid1(SALU_CYCLE_1)
	s_and_b32 s4, s4, vcc_lo
	s_and_saveexec_b32 s6, s4
; %bb.18:                               ;   in Loop: Header=BB9_4 Depth=1
	v_cmp_eq_f64_e64 s4, v[13:14], v[19:20]
	v_cmp_lt_i64_e32 vcc_lo, v[6:7], v[11:12]
	v_dual_mov_b32 v19, v9 :: v_dual_mov_b32 v20, v10
	v_dual_mov_b32 v22, v14 :: v_dual_cndmask_b32 v7, v12, v7
	s_delay_alu instid0(VALU_DEP_4) | instskip(SKIP_1) | instid1(VALU_DEP_2)
	s_and_b32 vcc_lo, s4, vcc_lo
	v_dual_mov_b32 v21, v13 :: v_dual_cndmask_b32 v6, v11, v6
	v_cndmask_b32_e64 v7, v12, v7, s4
; %bb.19:                               ;   in Loop: Header=BB9_4 Depth=1
	s_or_b32 exec_lo, exec_lo, s6
	v_dual_mov_b32 v10, v20 :: v_dual_mov_b32 v9, v19
	s_delay_alu instid0(VALU_DEP_2)
	v_dual_mov_b32 v12, v7 :: v_dual_mov_b32 v11, v6
	v_dual_mov_b32 v13, v21 :: v_dual_mov_b32 v14, v22
.LBB9_20:                               ;   in Loop: Header=BB9_4 Depth=1
	s_or_b32 exec_lo, exec_lo, s5
	ds_bpermute_b32 v6, v28, v11
	ds_bpermute_b32 v7, v28, v12
	s_waitcnt lgkmcnt(3)
	ds_bpermute_b32 v19, v28, v9
	s_waitcnt lgkmcnt(3)
	ds_bpermute_b32 v20, v28, v10
	s_mov_b32 s5, exec_lo
	s_waitcnt lgkmcnt(2)
	v_cmpx_ne_u64_e32 0, v[6:7]
	s_cbranch_execz .LBB9_24
; %bb.21:                               ;   in Loop: Header=BB9_4 Depth=1
	s_waitcnt lgkmcnt(0)
	v_cmp_nlt_f64_e32 vcc_lo, v[13:14], v[19:20]
	v_cmp_ne_u64_e64 s4, 0, v[11:12]
	v_dual_mov_b32 v22, v20 :: v_dual_mov_b32 v21, v19
	s_delay_alu instid0(VALU_DEP_2) | instskip(NEXT) | instid1(SALU_CYCLE_1)
	s_and_b32 s4, s4, vcc_lo
	s_and_saveexec_b32 s6, s4
; %bb.22:                               ;   in Loop: Header=BB9_4 Depth=1
	v_cmp_eq_f64_e64 s4, v[13:14], v[19:20]
	v_cmp_lt_i64_e32 vcc_lo, v[6:7], v[11:12]
	v_dual_mov_b32 v19, v9 :: v_dual_mov_b32 v20, v10
	v_dual_mov_b32 v22, v14 :: v_dual_cndmask_b32 v7, v12, v7
	s_delay_alu instid0(VALU_DEP_4) | instskip(SKIP_1) | instid1(VALU_DEP_2)
	s_and_b32 vcc_lo, s4, vcc_lo
	v_dual_mov_b32 v21, v13 :: v_dual_cndmask_b32 v6, v11, v6
	v_cndmask_b32_e64 v7, v12, v7, s4
; %bb.23:                               ;   in Loop: Header=BB9_4 Depth=1
	s_or_b32 exec_lo, exec_lo, s6
	v_dual_mov_b32 v10, v20 :: v_dual_mov_b32 v9, v19
	s_delay_alu instid0(VALU_DEP_2)
	v_dual_mov_b32 v12, v7 :: v_dual_mov_b32 v11, v6
	v_dual_mov_b32 v13, v21 :: v_dual_mov_b32 v14, v22
.LBB9_24:                               ;   in Loop: Header=BB9_4 Depth=1
	s_or_b32 exec_lo, exec_lo, s5
	s_waitcnt lgkmcnt(1)
	ds_bpermute_b32 v19, v29, v11
	s_waitcnt lgkmcnt(1)
	ds_bpermute_b32 v20, v29, v12
	ds_bpermute_b32 v6, v29, v9
	;; [unrolled: 1-line block ×3, first 2 shown]
	s_mov_b32 s15, exec_lo
	s_waitcnt lgkmcnt(2)
	v_cmpx_ne_u64_e32 0, v[19:20]
	s_cbranch_execz .LBB9_26
; %bb.25:                               ;   in Loop: Header=BB9_4 Depth=1
	s_waitcnt lgkmcnt(0)
	v_cmp_eq_f64_e32 vcc_lo, v[13:14], v[6:7]
	v_cmp_lt_f64_e64 s4, v[13:14], v[6:7]
	v_cmp_lt_i64_e64 s5, v[19:20], v[11:12]
	v_cmp_eq_u64_e64 s6, 0, v[11:12]
	s_delay_alu instid0(VALU_DEP_2) | instskip(NEXT) | instid1(VALU_DEP_1)
	s_and_b32 vcc_lo, vcc_lo, s5
	s_or_b32 s4, s6, s4
	v_cndmask_b32_e32 v8, v12, v20, vcc_lo
	s_or_b32 vcc_lo, s4, vcc_lo
	v_cndmask_b32_e64 v14, v14, v7, s4
	v_cndmask_b32_e32 v11, v11, v19, vcc_lo
	v_cndmask_b32_e64 v13, v13, v6, s4
	v_cndmask_b32_e64 v12, v8, v20, s4
.LBB9_26:                               ;   in Loop: Header=BB9_4 Depth=1
	s_or_b32 exec_lo, exec_lo, s15
	s_and_saveexec_b32 s4, s3
	s_cbranch_execz .LBB9_28
; %bb.27:                               ;   in Loop: Header=BB9_4 Depth=1
	ds_store_b128 v30, v[11:14]
.LBB9_28:                               ;   in Loop: Header=BB9_4 Depth=1
	s_or_b32 exec_lo, exec_lo, s4
	s_waitcnt lgkmcnt(0)
	v_mov_b32_e32 v7, 0
	v_dual_mov_b32 v8, 0 :: v_dual_mov_b32 v9, 0
	v_mov_b32_e32 v10, 0
	s_barrier
	buffer_gl0_inv
	s_and_saveexec_b32 s4, s2
	s_cbranch_execz .LBB9_30
; %bb.29:                               ;   in Loop: Header=BB9_4 Depth=1
	ds_load_b128 v[7:10], v24
.LBB9_30:                               ;   in Loop: Header=BB9_4 Depth=1
	s_or_b32 exec_lo, exec_lo, s4
	s_and_saveexec_b32 s15, s2
	s_cbranch_execz .LBB9_50
; %bb.31:                               ;   in Loop: Header=BB9_4 Depth=1
	s_waitcnt lgkmcnt(0)
	ds_bpermute_b32 v13, v25, v7
	ds_bpermute_b32 v14, v25, v8
	ds_bpermute_b32 v19, v25, v9
	ds_bpermute_b32 v20, v25, v10
	v_dual_mov_b32 v12, v10 :: v_dual_mov_b32 v11, v9
	s_mov_b32 s5, exec_lo
	s_waitcnt lgkmcnt(2)
	v_cmpx_ne_u64_e32 0, v[13:14]
	s_cbranch_execz .LBB9_35
; %bb.32:                               ;   in Loop: Header=BB9_4 Depth=1
	s_waitcnt lgkmcnt(0)
	v_cmp_nlt_f64_e32 vcc_lo, v[9:10], v[19:20]
	v_cmp_ne_u64_e64 s4, 0, v[7:8]
	v_dual_mov_b32 v11, v19 :: v_dual_mov_b32 v12, v20
	s_delay_alu instid0(VALU_DEP_2) | instskip(NEXT) | instid1(SALU_CYCLE_1)
	s_and_b32 s4, s4, vcc_lo
	s_and_saveexec_b32 s6, s4
; %bb.33:                               ;   in Loop: Header=BB9_4 Depth=1
	v_cmp_eq_f64_e64 s4, v[9:10], v[19:20]
	v_cmp_lt_i64_e32 vcc_lo, v[13:14], v[7:8]
	v_dual_mov_b32 v12, v10 :: v_dual_mov_b32 v19, v9
	v_dual_mov_b32 v11, v9 :: v_dual_mov_b32 v20, v10
	v_cndmask_b32_e32 v6, v8, v14, vcc_lo
	s_and_b32 vcc_lo, s4, vcc_lo
	s_delay_alu instid0(VALU_DEP_1)
	v_cndmask_b32_e64 v14, v8, v6, s4
	v_cndmask_b32_e32 v13, v7, v13, vcc_lo
; %bb.34:                               ;   in Loop: Header=BB9_4 Depth=1
	s_or_b32 exec_lo, exec_lo, s6
	v_dual_mov_b32 v10, v20 :: v_dual_mov_b32 v9, v19
	s_delay_alu instid0(VALU_DEP_2)
	v_dual_mov_b32 v7, v13 :: v_dual_mov_b32 v8, v14
.LBB9_35:                               ;   in Loop: Header=BB9_4 Depth=1
	s_or_b32 exec_lo, exec_lo, s5
	ds_bpermute_b32 v13, v26, v7
	ds_bpermute_b32 v14, v26, v8
	s_waitcnt lgkmcnt(3)
	ds_bpermute_b32 v19, v26, v9
	s_waitcnt lgkmcnt(3)
	ds_bpermute_b32 v20, v26, v10
	s_mov_b32 s5, exec_lo
	s_waitcnt lgkmcnt(2)
	v_cmpx_ne_u64_e32 0, v[13:14]
	s_cbranch_execz .LBB9_39
; %bb.36:                               ;   in Loop: Header=BB9_4 Depth=1
	s_waitcnt lgkmcnt(0)
	v_cmp_nlt_f64_e32 vcc_lo, v[11:12], v[19:20]
	v_cmp_ne_u64_e64 s4, 0, v[7:8]
	v_dual_mov_b32 v22, v20 :: v_dual_mov_b32 v21, v19
	s_delay_alu instid0(VALU_DEP_2) | instskip(NEXT) | instid1(SALU_CYCLE_1)
	s_and_b32 s4, s4, vcc_lo
	s_and_saveexec_b32 s6, s4
; %bb.37:                               ;   in Loop: Header=BB9_4 Depth=1
	v_cmp_eq_f64_e64 s4, v[11:12], v[19:20]
	v_cmp_lt_i64_e32 vcc_lo, v[13:14], v[7:8]
	v_dual_mov_b32 v22, v12 :: v_dual_mov_b32 v19, v9
	v_dual_mov_b32 v21, v11 :: v_dual_mov_b32 v20, v10
	v_cndmask_b32_e32 v6, v8, v14, vcc_lo
	s_and_b32 vcc_lo, s4, vcc_lo
	s_delay_alu instid0(VALU_DEP_1)
	v_cndmask_b32_e64 v14, v8, v6, s4
	v_cndmask_b32_e32 v13, v7, v13, vcc_lo
; %bb.38:                               ;   in Loop: Header=BB9_4 Depth=1
	s_or_b32 exec_lo, exec_lo, s6
	v_dual_mov_b32 v10, v20 :: v_dual_mov_b32 v9, v19
	s_delay_alu instid0(VALU_DEP_2)
	v_dual_mov_b32 v7, v13 :: v_dual_mov_b32 v8, v14
	v_dual_mov_b32 v11, v21 :: v_dual_mov_b32 v12, v22
.LBB9_39:                               ;   in Loop: Header=BB9_4 Depth=1
	s_or_b32 exec_lo, exec_lo, s5
	ds_bpermute_b32 v13, v27, v7
	ds_bpermute_b32 v14, v27, v8
	s_waitcnt lgkmcnt(3)
	ds_bpermute_b32 v19, v27, v9
	s_waitcnt lgkmcnt(3)
	ds_bpermute_b32 v20, v27, v10
	s_mov_b32 s5, exec_lo
	s_waitcnt lgkmcnt(2)
	v_cmpx_ne_u64_e32 0, v[13:14]
	s_cbranch_execz .LBB9_43
; %bb.40:                               ;   in Loop: Header=BB9_4 Depth=1
	s_waitcnt lgkmcnt(0)
	v_cmp_nlt_f64_e32 vcc_lo, v[11:12], v[19:20]
	v_cmp_ne_u64_e64 s4, 0, v[7:8]
	v_dual_mov_b32 v22, v20 :: v_dual_mov_b32 v21, v19
	s_delay_alu instid0(VALU_DEP_2) | instskip(NEXT) | instid1(SALU_CYCLE_1)
	s_and_b32 s4, s4, vcc_lo
	s_and_saveexec_b32 s6, s4
; %bb.41:                               ;   in Loop: Header=BB9_4 Depth=1
	v_cmp_eq_f64_e64 s4, v[11:12], v[19:20]
	v_cmp_lt_i64_e32 vcc_lo, v[13:14], v[7:8]
	v_dual_mov_b32 v22, v12 :: v_dual_mov_b32 v19, v9
	v_dual_mov_b32 v21, v11 :: v_dual_mov_b32 v20, v10
	v_cndmask_b32_e32 v6, v8, v14, vcc_lo
	s_and_b32 vcc_lo, s4, vcc_lo
	s_delay_alu instid0(VALU_DEP_1)
	v_cndmask_b32_e64 v14, v8, v6, s4
	v_cndmask_b32_e32 v13, v7, v13, vcc_lo
; %bb.42:                               ;   in Loop: Header=BB9_4 Depth=1
	s_or_b32 exec_lo, exec_lo, s6
	v_dual_mov_b32 v10, v20 :: v_dual_mov_b32 v9, v19
	s_delay_alu instid0(VALU_DEP_2)
	v_dual_mov_b32 v7, v13 :: v_dual_mov_b32 v8, v14
	v_dual_mov_b32 v11, v21 :: v_dual_mov_b32 v12, v22
.LBB9_43:                               ;   in Loop: Header=BB9_4 Depth=1
	;; [unrolled: 36-line block ×3, first 2 shown]
	s_or_b32 exec_lo, exec_lo, s5
	ds_bpermute_b32 v13, v29, v7
	ds_bpermute_b32 v14, v29, v8
	;; [unrolled: 1-line block ×4, first 2 shown]
	s_mov_b32 s18, exec_lo
	s_waitcnt lgkmcnt(2)
	v_cmpx_ne_u64_e32 0, v[13:14]
	s_cbranch_execz .LBB9_49
; %bb.48:                               ;   in Loop: Header=BB9_4 Depth=1
	s_waitcnt lgkmcnt(0)
	v_cmp_eq_f64_e32 vcc_lo, v[11:12], v[9:10]
	v_cmp_lt_f64_e64 s4, v[11:12], v[9:10]
	v_cmp_lt_i64_e64 s5, v[13:14], v[7:8]
	v_cmp_eq_u64_e64 s6, 0, v[7:8]
	s_delay_alu instid0(VALU_DEP_2) | instskip(NEXT) | instid1(VALU_DEP_1)
	s_and_b32 vcc_lo, vcc_lo, s5
	s_or_b32 s4, s6, s4
	v_cndmask_b32_e32 v6, v8, v14, vcc_lo
	s_or_b32 vcc_lo, s4, vcc_lo
	v_cndmask_b32_e64 v12, v12, v10, s4
	v_cndmask_b32_e32 v7, v7, v13, vcc_lo
	v_cndmask_b32_e64 v11, v11, v9, s4
	v_cndmask_b32_e64 v8, v6, v14, s4
.LBB9_49:                               ;   in Loop: Header=BB9_4 Depth=1
	s_or_b32 exec_lo, exec_lo, s18
	s_waitcnt lgkmcnt(0)
	s_delay_alu instid0(VALU_DEP_2)
	v_dual_mov_b32 v9, v11 :: v_dual_mov_b32 v10, v12
.LBB9_50:                               ;   in Loop: Header=BB9_4 Depth=1
	s_or_b32 exec_lo, exec_lo, s15
	s_waitcnt lgkmcnt(0)
	v_cmp_ne_u64_e32 vcc_lo, 0, v[7:8]
	s_and_b32 s4, s9, vcc_lo
	s_delay_alu instid0(SALU_CYCLE_1)
	s_and_saveexec_b32 s5, s4
	s_cbranch_execz .LBB9_3
; %bb.51:                               ;   in Loop: Header=BB9_4 Depth=1
	v_cmp_ngt_f64_e32 vcc_lo, v[9:10], v[3:4]
	v_cmp_ne_u64_e64 s4, 0, v[1:2]
	v_dual_mov_b32 v12, v10 :: v_dual_mov_b32 v11, v9
	s_delay_alu instid0(VALU_DEP_2) | instskip(NEXT) | instid1(SALU_CYCLE_1)
	s_and_b32 s4, s4, vcc_lo
	s_and_saveexec_b32 s6, s4
	s_cbranch_execz .LBB9_2
; %bb.52:                               ;   in Loop: Header=BB9_4 Depth=1
	v_cmp_eq_f64_e64 s4, v[3:4], v[9:10]
	v_cmp_lt_i64_e32 vcc_lo, v[7:8], v[1:2]
	v_dual_mov_b32 v12, v4 :: v_dual_mov_b32 v11, v3
	v_cndmask_b32_e32 v6, v2, v8, vcc_lo
	s_delay_alu instid0(VALU_DEP_4) | instskip(SKIP_1) | instid1(VALU_DEP_2)
	s_and_b32 vcc_lo, s4, vcc_lo
	v_cndmask_b32_e32 v7, v1, v7, vcc_lo
	v_cndmask_b32_e64 v8, v2, v6, s4
	s_branch .LBB9_2
.LBB9_53:
	v_mov_b32_e32 v1, 0
	v_mov_b32_e32 v2, 0
.LBB9_54:
	s_mov_b32 s15, 0
	s_mov_b32 s2, exec_lo
	v_cmpx_eq_u32_e32 0, v0
	s_cbranch_execz .LBB9_56
; %bb.55:
	s_clause 0x1
	s_load_b32 s2, s[0:1], 0x30
	s_load_b64 s[0:1], s[0:1], 0x28
	v_mov_b32_e32 v0, 0
	s_waitcnt lgkmcnt(0)
	s_mul_hi_u32 s3, s2, s8
	s_mul_i32 s2, s2, s8
	s_delay_alu instid0(SALU_CYCLE_1) | instskip(NEXT) | instid1(SALU_CYCLE_1)
	s_lshl_b64 s[2:3], s[2:3], 4
	s_add_u32 s2, s0, s2
	s_addc_u32 s3, s1, s3
	s_lshl_b64 s[0:1], s[14:15], 4
	s_delay_alu instid0(SALU_CYCLE_1)
	s_add_u32 s0, s2, s0
	s_addc_u32 s1, s3, s1
	global_store_b128 v0, v[1:4], s[0:1]
.LBB9_56:
	s_nop 0
	s_sendmsg sendmsg(MSG_DEALLOC_VGPRS)
	s_endpgm
	.section	.rodata,"a",@progbits
	.p2align	6, 0x0
	.amdhsa_kernel _ZL35rocblas_iamax_iamin_kernel_part1_64ILi1024E26rocblas_fetch_amax_amin_64IdE22rocblas_reduce_amax_64PKPK19rocblas_complex_numIdE24rocblas_index_64_value_tIdEEvlT2_lllPT3_
		.amdhsa_group_segment_fixed_size 512
		.amdhsa_private_segment_fixed_size 0
		.amdhsa_kernarg_size 304
		.amdhsa_user_sgpr_count 14
		.amdhsa_user_sgpr_dispatch_ptr 0
		.amdhsa_user_sgpr_queue_ptr 0
		.amdhsa_user_sgpr_kernarg_segment_ptr 1
		.amdhsa_user_sgpr_dispatch_id 0
		.amdhsa_user_sgpr_private_segment_size 0
		.amdhsa_wavefront_size32 1
		.amdhsa_uses_dynamic_stack 0
		.amdhsa_enable_private_segment 0
		.amdhsa_system_sgpr_workgroup_id_x 1
		.amdhsa_system_sgpr_workgroup_id_y 0
		.amdhsa_system_sgpr_workgroup_id_z 1
		.amdhsa_system_sgpr_workgroup_info 0
		.amdhsa_system_vgpr_workitem_id 0
		.amdhsa_next_free_vgpr 31
		.amdhsa_next_free_sgpr 24
		.amdhsa_reserve_vcc 1
		.amdhsa_float_round_mode_32 0
		.amdhsa_float_round_mode_16_64 0
		.amdhsa_float_denorm_mode_32 3
		.amdhsa_float_denorm_mode_16_64 3
		.amdhsa_dx10_clamp 1
		.amdhsa_ieee_mode 1
		.amdhsa_fp16_overflow 0
		.amdhsa_workgroup_processor_mode 1
		.amdhsa_memory_ordered 1
		.amdhsa_forward_progress 0
		.amdhsa_shared_vgpr_count 0
		.amdhsa_exception_fp_ieee_invalid_op 0
		.amdhsa_exception_fp_denorm_src 0
		.amdhsa_exception_fp_ieee_div_zero 0
		.amdhsa_exception_fp_ieee_overflow 0
		.amdhsa_exception_fp_ieee_underflow 0
		.amdhsa_exception_fp_ieee_inexact 0
		.amdhsa_exception_int_div_zero 0
	.end_amdhsa_kernel
	.section	.text._ZL35rocblas_iamax_iamin_kernel_part1_64ILi1024E26rocblas_fetch_amax_amin_64IdE22rocblas_reduce_amax_64PKPK19rocblas_complex_numIdE24rocblas_index_64_value_tIdEEvlT2_lllPT3_,"axG",@progbits,_ZL35rocblas_iamax_iamin_kernel_part1_64ILi1024E26rocblas_fetch_amax_amin_64IdE22rocblas_reduce_amax_64PKPK19rocblas_complex_numIdE24rocblas_index_64_value_tIdEEvlT2_lllPT3_,comdat
.Lfunc_end9:
	.size	_ZL35rocblas_iamax_iamin_kernel_part1_64ILi1024E26rocblas_fetch_amax_amin_64IdE22rocblas_reduce_amax_64PKPK19rocblas_complex_numIdE24rocblas_index_64_value_tIdEEvlT2_lllPT3_, .Lfunc_end9-_ZL35rocblas_iamax_iamin_kernel_part1_64ILi1024E26rocblas_fetch_amax_amin_64IdE22rocblas_reduce_amax_64PKPK19rocblas_complex_numIdE24rocblas_index_64_value_tIdEEvlT2_lllPT3_
                                        ; -- End function
	.section	.AMDGPU.csdata,"",@progbits
; Kernel info:
; codeLenInByte = 2624
; NumSgprs: 26
; NumVgprs: 31
; ScratchSize: 0
; MemoryBound: 0
; FloatMode: 240
; IeeeMode: 1
; LDSByteSize: 512 bytes/workgroup (compile time only)
; SGPRBlocks: 3
; VGPRBlocks: 3
; NumSGPRsForWavesPerEU: 26
; NumVGPRsForWavesPerEU: 31
; Occupancy: 16
; WaveLimiterHint : 0
; COMPUTE_PGM_RSRC2:SCRATCH_EN: 0
; COMPUTE_PGM_RSRC2:USER_SGPR: 14
; COMPUTE_PGM_RSRC2:TRAP_HANDLER: 0
; COMPUTE_PGM_RSRC2:TGID_X_EN: 1
; COMPUTE_PGM_RSRC2:TGID_Y_EN: 0
; COMPUTE_PGM_RSRC2:TGID_Z_EN: 1
; COMPUTE_PGM_RSRC2:TIDIG_COMP_CNT: 0
	.section	.text._ZL35rocblas_iamax_iamin_kernel_part1_64ILi1024E26rocblas_fetch_amax_amin_64IfE22rocblas_reduce_amin_64PKf24rocblas_index_64_value_tIfEEvlT2_lllPT3_,"axG",@progbits,_ZL35rocblas_iamax_iamin_kernel_part1_64ILi1024E26rocblas_fetch_amax_amin_64IfE22rocblas_reduce_amin_64PKf24rocblas_index_64_value_tIfEEvlT2_lllPT3_,comdat
	.globl	_ZL35rocblas_iamax_iamin_kernel_part1_64ILi1024E26rocblas_fetch_amax_amin_64IfE22rocblas_reduce_amin_64PKf24rocblas_index_64_value_tIfEEvlT2_lllPT3_ ; -- Begin function _ZL35rocblas_iamax_iamin_kernel_part1_64ILi1024E26rocblas_fetch_amax_amin_64IfE22rocblas_reduce_amin_64PKf24rocblas_index_64_value_tIfEEvlT2_lllPT3_
	.p2align	8
	.type	_ZL35rocblas_iamax_iamin_kernel_part1_64ILi1024E26rocblas_fetch_amax_amin_64IfE22rocblas_reduce_amin_64PKf24rocblas_index_64_value_tIfEEvlT2_lllPT3_,@function
_ZL35rocblas_iamax_iamin_kernel_part1_64ILi1024E26rocblas_fetch_amax_amin_64IfE22rocblas_reduce_amin_64PKf24rocblas_index_64_value_tIfEEvlT2_lllPT3_: ; @_ZL35rocblas_iamax_iamin_kernel_part1_64ILi1024E26rocblas_fetch_amax_amin_64IfE22rocblas_reduce_amin_64PKf24rocblas_index_64_value_tIfEEvlT2_lllPT3_
; %bb.0:
	s_clause 0x1
	s_load_b256 s[16:23], s[0:1], 0x0
	s_load_b128 s[8:11], s[0:1], 0x20
	s_mov_b32 s2, s15
	s_waitcnt lgkmcnt(0)
	v_cmp_lt_i64_e64 s3, s[16:17], 1
	s_delay_alu instid0(VALU_DEP_1)
	s_and_b32 vcc_lo, exec_lo, s3
	s_cbranch_vccnz .LBB10_53
; %bb.1:
	v_mbcnt_lo_u32_b32 v3, -1, 0
	v_lshl_or_b32 v14, s14, 10, v0
	s_load_b32 s5, s[0:1], 0x30
	s_mul_i32 s6, s9, s2
	s_mul_hi_u32 s7, s8, s2
	v_cmp_gt_u32_e32 vcc_lo, 16, v3
	s_add_i32 s7, s7, s6
	s_mul_i32 s6, s8, s2
	s_lshl_b64 s[8:9], s[20:21], 2
	s_lshl_b64 s[6:7], s[6:7], 2
	v_cndmask_b32_e64 v1, 0, 1, vcc_lo
	v_cmp_gt_u32_e32 vcc_lo, 24, v3
	v_cmp_gt_u32_e64 s3, 32, v0
	s_mov_b64 s[12:13], 0
                                        ; implicit-def: $vgpr22
	s_delay_alu instid0(VALU_DEP_3) | instskip(SKIP_2) | instid1(VALU_DEP_3)
	v_lshlrev_b32_e32 v1, 4, v1
	v_cndmask_b32_e64 v2, 0, 1, vcc_lo
	v_cmp_gt_u32_e32 vcc_lo, 28, v3
	v_add_lshl_u32 v16, v1, v3, 2
	s_delay_alu instid0(VALU_DEP_3)
	v_lshlrev_b32_e32 v2, 3, v2
	v_cndmask_b32_e64 v4, 0, 1, vcc_lo
	v_cmp_gt_u32_e32 vcc_lo, 30, v3
	s_waitcnt lgkmcnt(0)
	s_lshl_b32 s15, s5, 10
	s_add_u32 s5, s18, s8
	s_addc_u32 s8, s19, s9
	s_add_u32 s5, s5, s6
	v_cndmask_b32_e64 v6, 0, 1, vcc_lo
	v_cmp_ne_u32_e32 vcc_lo, 31, v3
	s_addc_u32 s6, s8, s7
	s_mul_i32 s7, s23, s15
	s_mul_hi_u32 s8, s22, s15
	v_lshlrev_b32_e32 v6, 1, v6
	v_add_co_ci_u32_e32 v7, vcc_lo, 0, v3, vcc_lo
	v_cmp_ne_u32_e32 vcc_lo, 0, v0
	s_add_i32 s7, s8, s7
	s_delay_alu instid0(VALU_DEP_3) | instskip(SKIP_3) | instid1(VALU_DEP_2)
	v_add_lshl_u32 v19, v6, v3, 2
	v_lshrrev_b32_e32 v6, 1, v0
	v_lshlrev_b32_e32 v20, 2, v7
	s_xor_b32 s18, vcc_lo, -1
	v_dual_mov_b32 v6, 0 :: v_dual_and_b32 v21, 0x1f0, v6
	v_mov_b32_e32 v7, 0
	v_add_lshl_u32 v17, v2, v3, 2
	v_mad_u64_u32 v[1:2], null, s22, v14, 0
	v_lshlrev_b32_e32 v4, 2, v4
	s_delay_alu instid0(VALU_DEP_1) | instskip(NEXT) | instid1(VALU_DEP_3)
	v_add_lshl_u32 v18, v4, v3, 2
	v_mad_u64_u32 v[3:4], null, s23, v14, v[2:3]
	v_dual_mov_b32 v4, 0 :: v_dual_and_b32 v5, 31, v0
	s_delay_alu instid0(VALU_DEP_1) | instskip(SKIP_1) | instid1(VALU_DEP_2)
	v_dual_mov_b32 v2, v3 :: v_dual_lshlrev_b32 v15, 4, v5
	v_cmp_eq_u32_e64 s4, 0, v5
	v_lshlrev_b64 v[1:2], 2, v[1:2]
	s_delay_alu instid0(VALU_DEP_1) | instskip(NEXT) | instid1(VALU_DEP_1)
	v_add_co_u32 v8, s5, s5, v1
	v_add_co_ci_u32_e64 v9, s5, s6, v2, s5
	v_dual_mov_b32 v1, v6 :: v_dual_mov_b32 v2, v7
	s_mul_i32 s6, s22, s15
	s_delay_alu instid0(SALU_CYCLE_1)
	s_lshl_b64 s[8:9], s[6:7], 2
	s_branch .LBB10_4
.LBB10_2:                               ;   in Loop: Header=BB10_4 Depth=1
	s_or_b32 exec_lo, exec_lo, s7
	s_delay_alu instid0(VALU_DEP_2) | instskip(NEXT) | instid1(VALU_DEP_2)
	v_dual_mov_b32 v1, v10 :: v_dual_mov_b32 v2, v11
	v_mov_b32_e32 v3, v5
.LBB10_3:                               ;   in Loop: Header=BB10_4 Depth=1
	s_or_b32 exec_lo, exec_lo, s6
	s_add_u32 s12, s12, s15
	s_addc_u32 s13, s13, 0
	v_add_co_u32 v8, vcc_lo, v8, s8
	v_cmp_ge_i64_e64 s5, s[12:13], s[16:17]
	v_add_co_ci_u32_e32 v9, vcc_lo, s9, v9, vcc_lo
	s_delay_alu instid0(VALU_DEP_2)
	s_and_b32 vcc_lo, exec_lo, s5
	s_cbranch_vccnz .LBB10_54
.LBB10_4:                               ; =>This Inner Loop Header: Depth=1
	v_add_co_u32 v12, s5, v14, s12
	s_delay_alu instid0(VALU_DEP_1) | instskip(SKIP_2) | instid1(VALU_DEP_2)
	v_add_co_ci_u32_e64 v13, null, 0, s13, s5
	v_dual_mov_b32 v11, v7 :: v_dual_mov_b32 v10, v6
	s_mov_b32 s5, exec_lo
	v_cmpx_gt_i64_e64 s[16:17], v[12:13]
	s_cbranch_execz .LBB10_6
; %bb.5:                                ;   in Loop: Header=BB10_4 Depth=1
	global_load_b32 v5, v[8:9], off
	v_add_co_u32 v10, vcc_lo, v12, 1
	v_add_co_ci_u32_e32 v11, vcc_lo, 0, v13, vcc_lo
	s_waitcnt vmcnt(0)
	v_cmp_gt_f32_e32 vcc_lo, 0, v5
	s_waitcnt lgkmcnt(0)
	v_cndmask_b32_e64 v22, v5, -v5, vcc_lo
.LBB10_6:                               ;   in Loop: Header=BB10_4 Depth=1
	s_or_b32 exec_lo, exec_lo, s5
	s_and_saveexec_b32 s5, s3
	s_cbranch_execz .LBB10_8
; %bb.7:                                ;   in Loop: Header=BB10_4 Depth=1
	v_mov_b32_e32 v5, v4
	ds_store_b64 v15, v[4:5]
	ds_store_b32 v15, v4 offset:8
.LBB10_8:                               ;   in Loop: Header=BB10_4 Depth=1
	s_or_b32 exec_lo, exec_lo, s5
	ds_bpermute_b32 v12, v16, v10
	ds_bpermute_b32 v13, v16, v11
	s_waitcnt lgkmcnt(2)
	ds_bpermute_b32 v23, v16, v22
	v_mov_b32_e32 v5, v22
	s_mov_b32 s6, exec_lo
	s_waitcnt lgkmcnt(0)
	s_barrier
	buffer_gl0_inv
	v_cmpx_ne_u64_e32 0, v[12:13]
	s_cbranch_execz .LBB10_12
; %bb.9:                                ;   in Loop: Header=BB10_4 Depth=1
	v_cmp_ne_u64_e32 vcc_lo, 0, v[10:11]
	v_cmp_ngt_f32_e64 s5, v22, v23
	s_delay_alu instid0(VALU_DEP_1) | instskip(NEXT) | instid1(SALU_CYCLE_1)
	s_and_b32 s5, vcc_lo, s5
	s_and_saveexec_b32 s7, s5
; %bb.10:                               ;   in Loop: Header=BB10_4 Depth=1
	v_cmp_lt_i64_e32 vcc_lo, v[12:13], v[10:11]
	v_cmp_eq_f32_e64 s5, v22, v23
	v_mov_b32_e32 v23, v22
	v_cndmask_b32_e32 v5, v11, v13, vcc_lo
	s_delay_alu instid0(VALU_DEP_3) | instskip(SKIP_1) | instid1(VALU_DEP_2)
	s_and_b32 vcc_lo, s5, vcc_lo
	v_cndmask_b32_e32 v12, v10, v12, vcc_lo
	v_cndmask_b32_e64 v13, v11, v5, s5
; %bb.11:                               ;   in Loop: Header=BB10_4 Depth=1
	s_or_b32 exec_lo, exec_lo, s7
	s_delay_alu instid0(VALU_DEP_2) | instskip(NEXT) | instid1(VALU_DEP_2)
	v_dual_mov_b32 v10, v12 :: v_dual_mov_b32 v5, v23
	v_dual_mov_b32 v22, v23 :: v_dual_mov_b32 v11, v13
.LBB10_12:                              ;   in Loop: Header=BB10_4 Depth=1
	s_or_b32 exec_lo, exec_lo, s6
	ds_bpermute_b32 v12, v17, v10
	ds_bpermute_b32 v13, v17, v11
	;; [unrolled: 1-line block ×3, first 2 shown]
	s_mov_b32 s6, exec_lo
	s_waitcnt lgkmcnt(1)
	v_cmpx_ne_u64_e32 0, v[12:13]
	s_cbranch_execz .LBB10_16
; %bb.13:                               ;   in Loop: Header=BB10_4 Depth=1
	v_cmp_ne_u64_e32 vcc_lo, 0, v[10:11]
	s_waitcnt lgkmcnt(0)
	v_cmp_ngt_f32_e64 s5, v5, v23
	v_mov_b32_e32 v24, v23
	s_delay_alu instid0(VALU_DEP_2) | instskip(NEXT) | instid1(SALU_CYCLE_1)
	s_and_b32 s5, vcc_lo, s5
	s_and_saveexec_b32 s7, s5
; %bb.14:                               ;   in Loop: Header=BB10_4 Depth=1
	v_cmp_lt_i64_e32 vcc_lo, v[12:13], v[10:11]
	v_cmp_eq_f32_e64 s5, v5, v23
	v_dual_mov_b32 v23, v22 :: v_dual_mov_b32 v24, v5
	v_cndmask_b32_e32 v13, v11, v13, vcc_lo
	s_delay_alu instid0(VALU_DEP_3) | instskip(SKIP_1) | instid1(VALU_DEP_2)
	s_and_b32 vcc_lo, s5, vcc_lo
	v_cndmask_b32_e32 v12, v10, v12, vcc_lo
	v_cndmask_b32_e64 v13, v11, v13, s5
; %bb.15:                               ;   in Loop: Header=BB10_4 Depth=1
	s_or_b32 exec_lo, exec_lo, s7
	s_delay_alu instid0(VALU_DEP_2) | instskip(NEXT) | instid1(VALU_DEP_2)
	v_mov_b32_e32 v10, v12
	v_dual_mov_b32 v22, v23 :: v_dual_mov_b32 v11, v13
	v_mov_b32_e32 v5, v24
.LBB10_16:                              ;   in Loop: Header=BB10_4 Depth=1
	s_or_b32 exec_lo, exec_lo, s6
	ds_bpermute_b32 v12, v18, v10
	ds_bpermute_b32 v13, v18, v11
	s_waitcnt lgkmcnt(2)
	ds_bpermute_b32 v23, v18, v22
	s_mov_b32 s6, exec_lo
	s_waitcnt lgkmcnt(1)
	v_cmpx_ne_u64_e32 0, v[12:13]
	s_cbranch_execz .LBB10_20
; %bb.17:                               ;   in Loop: Header=BB10_4 Depth=1
	v_cmp_ne_u64_e32 vcc_lo, 0, v[10:11]
	s_waitcnt lgkmcnt(0)
	v_cmp_ngt_f32_e64 s5, v5, v23
	v_mov_b32_e32 v24, v23
	s_delay_alu instid0(VALU_DEP_2) | instskip(NEXT) | instid1(SALU_CYCLE_1)
	s_and_b32 s5, vcc_lo, s5
	s_and_saveexec_b32 s7, s5
; %bb.18:                               ;   in Loop: Header=BB10_4 Depth=1
	v_cmp_lt_i64_e32 vcc_lo, v[12:13], v[10:11]
	v_cmp_eq_f32_e64 s5, v5, v23
	v_dual_mov_b32 v23, v22 :: v_dual_mov_b32 v24, v5
	v_cndmask_b32_e32 v13, v11, v13, vcc_lo
	s_delay_alu instid0(VALU_DEP_3) | instskip(SKIP_1) | instid1(VALU_DEP_2)
	s_and_b32 vcc_lo, s5, vcc_lo
	v_cndmask_b32_e32 v12, v10, v12, vcc_lo
	v_cndmask_b32_e64 v13, v11, v13, s5
; %bb.19:                               ;   in Loop: Header=BB10_4 Depth=1
	s_or_b32 exec_lo, exec_lo, s7
	s_delay_alu instid0(VALU_DEP_2) | instskip(NEXT) | instid1(VALU_DEP_2)
	v_mov_b32_e32 v10, v12
	v_dual_mov_b32 v22, v23 :: v_dual_mov_b32 v11, v13
	v_mov_b32_e32 v5, v24
.LBB10_20:                              ;   in Loop: Header=BB10_4 Depth=1
	s_or_b32 exec_lo, exec_lo, s6
	ds_bpermute_b32 v12, v19, v10
	ds_bpermute_b32 v13, v19, v11
	s_waitcnt lgkmcnt(2)
	ds_bpermute_b32 v23, v19, v22
	s_mov_b32 s6, exec_lo
	s_waitcnt lgkmcnt(1)
	v_cmpx_ne_u64_e32 0, v[12:13]
	s_cbranch_execz .LBB10_24
; %bb.21:                               ;   in Loop: Header=BB10_4 Depth=1
	v_cmp_ne_u64_e32 vcc_lo, 0, v[10:11]
	s_waitcnt lgkmcnt(0)
	v_cmp_ngt_f32_e64 s5, v5, v23
	v_mov_b32_e32 v24, v23
	s_delay_alu instid0(VALU_DEP_2) | instskip(NEXT) | instid1(SALU_CYCLE_1)
	s_and_b32 s5, vcc_lo, s5
	s_and_saveexec_b32 s7, s5
; %bb.22:                               ;   in Loop: Header=BB10_4 Depth=1
	v_cmp_lt_i64_e32 vcc_lo, v[12:13], v[10:11]
	v_cmp_eq_f32_e64 s5, v5, v23
	v_dual_mov_b32 v23, v22 :: v_dual_mov_b32 v24, v5
	v_cndmask_b32_e32 v13, v11, v13, vcc_lo
	s_delay_alu instid0(VALU_DEP_3) | instskip(SKIP_1) | instid1(VALU_DEP_2)
	s_and_b32 vcc_lo, s5, vcc_lo
	v_cndmask_b32_e32 v12, v10, v12, vcc_lo
	v_cndmask_b32_e64 v13, v11, v13, s5
; %bb.23:                               ;   in Loop: Header=BB10_4 Depth=1
	s_or_b32 exec_lo, exec_lo, s7
	s_delay_alu instid0(VALU_DEP_2) | instskip(NEXT) | instid1(VALU_DEP_2)
	v_mov_b32_e32 v10, v12
	v_dual_mov_b32 v22, v23 :: v_dual_mov_b32 v11, v13
	v_mov_b32_e32 v5, v24
.LBB10_24:                              ;   in Loop: Header=BB10_4 Depth=1
	s_or_b32 exec_lo, exec_lo, s6
	ds_bpermute_b32 v12, v20, v10
	ds_bpermute_b32 v13, v20, v11
	;; [unrolled: 1-line block ×3, first 2 shown]
	s_mov_b32 s19, exec_lo
	s_waitcnt lgkmcnt(1)
	v_cmpx_ne_u64_e32 0, v[12:13]
	s_cbranch_execz .LBB10_26
; %bb.25:                               ;   in Loop: Header=BB10_4 Depth=1
	v_cmp_lt_i64_e32 vcc_lo, v[12:13], v[10:11]
	s_waitcnt lgkmcnt(0)
	v_cmp_eq_f32_e64 s5, v5, v22
	v_cmp_eq_u64_e64 s6, 0, v[10:11]
	v_cmp_gt_f32_e64 s7, v5, v22
	s_delay_alu instid0(VALU_DEP_3) | instskip(NEXT) | instid1(VALU_DEP_1)
	s_and_b32 vcc_lo, s5, vcc_lo
	s_or_b32 s5, s6, s7
	v_cndmask_b32_e32 v11, v11, v13, vcc_lo
	s_or_b32 vcc_lo, s5, vcc_lo
	v_cndmask_b32_e64 v5, v5, v22, s5
	v_cndmask_b32_e32 v10, v10, v12, vcc_lo
	s_delay_alu instid0(VALU_DEP_3)
	v_cndmask_b32_e64 v11, v11, v13, s5
.LBB10_26:                              ;   in Loop: Header=BB10_4 Depth=1
	s_or_b32 exec_lo, exec_lo, s19
	s_and_saveexec_b32 s5, s4
	s_cbranch_execz .LBB10_28
; %bb.27:                               ;   in Loop: Header=BB10_4 Depth=1
	ds_store_b64 v21, v[10:11]
	ds_store_b32 v21, v5 offset:8
.LBB10_28:                              ;   in Loop: Header=BB10_4 Depth=1
	s_or_b32 exec_lo, exec_lo, s5
	v_mov_b32_e32 v10, 0
	s_waitcnt lgkmcnt(0)
	v_dual_mov_b32 v11, 0 :: v_dual_mov_b32 v22, 0
	s_barrier
	buffer_gl0_inv
	s_and_saveexec_b32 s5, s3
	s_cbranch_execz .LBB10_30
; %bb.29:                               ;   in Loop: Header=BB10_4 Depth=1
	ds_load_b64 v[10:11], v15
	ds_load_b32 v22, v15 offset:8
.LBB10_30:                              ;   in Loop: Header=BB10_4 Depth=1
	s_or_b32 exec_lo, exec_lo, s5
	s_and_saveexec_b32 s19, s3
	s_cbranch_execz .LBB10_50
; %bb.31:                               ;   in Loop: Header=BB10_4 Depth=1
	s_waitcnt lgkmcnt(1)
	ds_bpermute_b32 v12, v16, v10
	ds_bpermute_b32 v13, v16, v11
	s_waitcnt lgkmcnt(2)
	ds_bpermute_b32 v23, v16, v22
	v_mov_b32_e32 v5, v22
	s_mov_b32 s6, exec_lo
	s_waitcnt lgkmcnt(1)
	v_cmpx_ne_u64_e32 0, v[12:13]
	s_cbranch_execz .LBB10_35
; %bb.32:                               ;   in Loop: Header=BB10_4 Depth=1
	v_cmp_ne_u64_e32 vcc_lo, 0, v[10:11]
	s_waitcnt lgkmcnt(0)
	v_cmp_ngt_f32_e64 s5, v22, v23
	s_delay_alu instid0(VALU_DEP_1) | instskip(NEXT) | instid1(SALU_CYCLE_1)
	s_and_b32 s5, vcc_lo, s5
	s_and_saveexec_b32 s7, s5
; %bb.33:                               ;   in Loop: Header=BB10_4 Depth=1
	v_cmp_lt_i64_e32 vcc_lo, v[12:13], v[10:11]
	v_cmp_eq_f32_e64 s5, v22, v23
	v_mov_b32_e32 v23, v22
	v_cndmask_b32_e32 v5, v11, v13, vcc_lo
	s_delay_alu instid0(VALU_DEP_3) | instskip(SKIP_1) | instid1(VALU_DEP_2)
	s_and_b32 vcc_lo, s5, vcc_lo
	v_cndmask_b32_e32 v12, v10, v12, vcc_lo
	v_cndmask_b32_e64 v13, v11, v5, s5
; %bb.34:                               ;   in Loop: Header=BB10_4 Depth=1
	s_or_b32 exec_lo, exec_lo, s7
	s_delay_alu instid0(VALU_DEP_2) | instskip(NEXT) | instid1(VALU_DEP_2)
	v_dual_mov_b32 v10, v12 :: v_dual_mov_b32 v5, v23
	v_dual_mov_b32 v22, v23 :: v_dual_mov_b32 v11, v13
.LBB10_35:                              ;   in Loop: Header=BB10_4 Depth=1
	s_or_b32 exec_lo, exec_lo, s6
	ds_bpermute_b32 v12, v17, v10
	ds_bpermute_b32 v13, v17, v11
	s_waitcnt lgkmcnt(2)
	ds_bpermute_b32 v23, v17, v22
	s_mov_b32 s6, exec_lo
	s_waitcnt lgkmcnt(1)
	v_cmpx_ne_u64_e32 0, v[12:13]
	s_cbranch_execz .LBB10_39
; %bb.36:                               ;   in Loop: Header=BB10_4 Depth=1
	v_cmp_ne_u64_e32 vcc_lo, 0, v[10:11]
	s_waitcnt lgkmcnt(0)
	v_cmp_ngt_f32_e64 s5, v5, v23
	v_mov_b32_e32 v24, v23
	s_delay_alu instid0(VALU_DEP_2) | instskip(NEXT) | instid1(SALU_CYCLE_1)
	s_and_b32 s5, vcc_lo, s5
	s_and_saveexec_b32 s7, s5
; %bb.37:                               ;   in Loop: Header=BB10_4 Depth=1
	v_cmp_lt_i64_e32 vcc_lo, v[12:13], v[10:11]
	v_cmp_eq_f32_e64 s5, v5, v23
	v_dual_mov_b32 v23, v22 :: v_dual_mov_b32 v24, v5
	v_cndmask_b32_e32 v13, v11, v13, vcc_lo
	s_delay_alu instid0(VALU_DEP_3) | instskip(SKIP_1) | instid1(VALU_DEP_2)
	s_and_b32 vcc_lo, s5, vcc_lo
	v_cndmask_b32_e32 v12, v10, v12, vcc_lo
	v_cndmask_b32_e64 v13, v11, v13, s5
; %bb.38:                               ;   in Loop: Header=BB10_4 Depth=1
	s_or_b32 exec_lo, exec_lo, s7
	s_delay_alu instid0(VALU_DEP_2) | instskip(NEXT) | instid1(VALU_DEP_2)
	v_mov_b32_e32 v10, v12
	v_dual_mov_b32 v22, v23 :: v_dual_mov_b32 v11, v13
	v_mov_b32_e32 v5, v24
.LBB10_39:                              ;   in Loop: Header=BB10_4 Depth=1
	s_or_b32 exec_lo, exec_lo, s6
	ds_bpermute_b32 v12, v18, v10
	ds_bpermute_b32 v13, v18, v11
	s_waitcnt lgkmcnt(2)
	ds_bpermute_b32 v23, v18, v22
	s_mov_b32 s6, exec_lo
	s_waitcnt lgkmcnt(1)
	v_cmpx_ne_u64_e32 0, v[12:13]
	s_cbranch_execz .LBB10_43
; %bb.40:                               ;   in Loop: Header=BB10_4 Depth=1
	v_cmp_ne_u64_e32 vcc_lo, 0, v[10:11]
	s_waitcnt lgkmcnt(0)
	v_cmp_ngt_f32_e64 s5, v5, v23
	v_mov_b32_e32 v24, v23
	s_delay_alu instid0(VALU_DEP_2) | instskip(NEXT) | instid1(SALU_CYCLE_1)
	s_and_b32 s5, vcc_lo, s5
	s_and_saveexec_b32 s7, s5
; %bb.41:                               ;   in Loop: Header=BB10_4 Depth=1
	v_cmp_lt_i64_e32 vcc_lo, v[12:13], v[10:11]
	v_cmp_eq_f32_e64 s5, v5, v23
	v_dual_mov_b32 v23, v22 :: v_dual_mov_b32 v24, v5
	v_cndmask_b32_e32 v13, v11, v13, vcc_lo
	s_delay_alu instid0(VALU_DEP_3) | instskip(SKIP_1) | instid1(VALU_DEP_2)
	s_and_b32 vcc_lo, s5, vcc_lo
	v_cndmask_b32_e32 v12, v10, v12, vcc_lo
	v_cndmask_b32_e64 v13, v11, v13, s5
; %bb.42:                               ;   in Loop: Header=BB10_4 Depth=1
	s_or_b32 exec_lo, exec_lo, s7
	s_delay_alu instid0(VALU_DEP_2) | instskip(NEXT) | instid1(VALU_DEP_2)
	v_mov_b32_e32 v10, v12
	v_dual_mov_b32 v22, v23 :: v_dual_mov_b32 v11, v13
	v_mov_b32_e32 v5, v24
.LBB10_43:                              ;   in Loop: Header=BB10_4 Depth=1
	;; [unrolled: 33-line block ×3, first 2 shown]
	s_or_b32 exec_lo, exec_lo, s6
	ds_bpermute_b32 v12, v20, v10
	ds_bpermute_b32 v13, v20, v11
	;; [unrolled: 1-line block ×3, first 2 shown]
	s_mov_b32 s20, exec_lo
	s_waitcnt lgkmcnt(1)
	v_cmpx_ne_u64_e32 0, v[12:13]
	s_cbranch_execz .LBB10_49
; %bb.48:                               ;   in Loop: Header=BB10_4 Depth=1
	v_cmp_lt_i64_e32 vcc_lo, v[12:13], v[10:11]
	s_waitcnt lgkmcnt(0)
	v_cmp_eq_f32_e64 s5, v5, v22
	v_cmp_eq_u64_e64 s6, 0, v[10:11]
	v_cmp_gt_f32_e64 s7, v5, v22
	s_delay_alu instid0(VALU_DEP_3) | instskip(NEXT) | instid1(VALU_DEP_1)
	s_and_b32 vcc_lo, s5, vcc_lo
	s_or_b32 s5, s6, s7
	v_cndmask_b32_e32 v11, v11, v13, vcc_lo
	s_or_b32 vcc_lo, s5, vcc_lo
	v_cndmask_b32_e64 v5, v5, v22, s5
	v_cndmask_b32_e32 v10, v10, v12, vcc_lo
	s_delay_alu instid0(VALU_DEP_3)
	v_cndmask_b32_e64 v11, v11, v13, s5
.LBB10_49:                              ;   in Loop: Header=BB10_4 Depth=1
	s_or_b32 exec_lo, exec_lo, s20
	s_waitcnt lgkmcnt(0)
	v_mov_b32_e32 v22, v5
.LBB10_50:                              ;   in Loop: Header=BB10_4 Depth=1
	s_or_b32 exec_lo, exec_lo, s19
	s_waitcnt lgkmcnt(1)
	v_cmp_ne_u64_e32 vcc_lo, 0, v[10:11]
	s_and_b32 s5, s18, vcc_lo
	s_delay_alu instid0(SALU_CYCLE_1)
	s_and_saveexec_b32 s6, s5
	s_cbranch_execz .LBB10_3
; %bb.51:                               ;   in Loop: Header=BB10_4 Depth=1
	v_cmp_ne_u64_e32 vcc_lo, 0, v[1:2]
	s_waitcnt lgkmcnt(0)
	v_cmp_nlt_f32_e64 s5, v22, v3
	v_mov_b32_e32 v5, v22
	s_delay_alu instid0(VALU_DEP_2) | instskip(NEXT) | instid1(SALU_CYCLE_1)
	s_and_b32 s5, vcc_lo, s5
	s_and_saveexec_b32 s7, s5
	s_cbranch_execz .LBB10_2
; %bb.52:                               ;   in Loop: Header=BB10_4 Depth=1
	v_cmp_lt_i64_e32 vcc_lo, v[10:11], v[1:2]
	v_cmp_eq_f32_e64 s5, v3, v22
	v_cndmask_b32_e32 v5, v2, v11, vcc_lo
	s_delay_alu instid0(VALU_DEP_2) | instskip(SKIP_1) | instid1(VALU_DEP_2)
	s_and_b32 vcc_lo, s5, vcc_lo
	v_cndmask_b32_e32 v10, v1, v10, vcc_lo
	v_cndmask_b32_e64 v11, v2, v5, s5
	v_mov_b32_e32 v5, v3
	s_branch .LBB10_2
.LBB10_53:
	v_mov_b32_e32 v1, 0
	v_mov_b32_e32 v2, 0
.LBB10_54:
	s_mov_b32 s15, 0
	s_mov_b32 s3, exec_lo
	v_cmpx_eq_u32_e32 0, v0
	s_cbranch_execz .LBB10_56
; %bb.55:
	s_load_b32 s0, s[0:1], 0x30
	v_mov_b32_e32 v0, 0
	s_waitcnt lgkmcnt(0)
	s_mul_hi_u32 s1, s0, s2
	s_mul_i32 s0, s0, s2
	s_delay_alu instid0(SALU_CYCLE_1) | instskip(NEXT) | instid1(SALU_CYCLE_1)
	s_lshl_b64 s[0:1], s[0:1], 4
	s_add_u32 s2, s10, s0
	s_addc_u32 s3, s11, s1
	s_lshl_b64 s[0:1], s[14:15], 4
	s_delay_alu instid0(SALU_CYCLE_1)
	s_add_u32 s0, s2, s0
	s_addc_u32 s1, s3, s1
	global_store_b96 v0, v[1:3], s[0:1]
.LBB10_56:
	s_nop 0
	s_sendmsg sendmsg(MSG_DEALLOC_VGPRS)
	s_endpgm
	.section	.rodata,"a",@progbits
	.p2align	6, 0x0
	.amdhsa_kernel _ZL35rocblas_iamax_iamin_kernel_part1_64ILi1024E26rocblas_fetch_amax_amin_64IfE22rocblas_reduce_amin_64PKf24rocblas_index_64_value_tIfEEvlT2_lllPT3_
		.amdhsa_group_segment_fixed_size 512
		.amdhsa_private_segment_fixed_size 0
		.amdhsa_kernarg_size 304
		.amdhsa_user_sgpr_count 14
		.amdhsa_user_sgpr_dispatch_ptr 0
		.amdhsa_user_sgpr_queue_ptr 0
		.amdhsa_user_sgpr_kernarg_segment_ptr 1
		.amdhsa_user_sgpr_dispatch_id 0
		.amdhsa_user_sgpr_private_segment_size 0
		.amdhsa_wavefront_size32 1
		.amdhsa_uses_dynamic_stack 0
		.amdhsa_enable_private_segment 0
		.amdhsa_system_sgpr_workgroup_id_x 1
		.amdhsa_system_sgpr_workgroup_id_y 0
		.amdhsa_system_sgpr_workgroup_id_z 1
		.amdhsa_system_sgpr_workgroup_info 0
		.amdhsa_system_vgpr_workitem_id 0
		.amdhsa_next_free_vgpr 25
		.amdhsa_next_free_sgpr 24
		.amdhsa_reserve_vcc 1
		.amdhsa_float_round_mode_32 0
		.amdhsa_float_round_mode_16_64 0
		.amdhsa_float_denorm_mode_32 3
		.amdhsa_float_denorm_mode_16_64 3
		.amdhsa_dx10_clamp 1
		.amdhsa_ieee_mode 1
		.amdhsa_fp16_overflow 0
		.amdhsa_workgroup_processor_mode 1
		.amdhsa_memory_ordered 1
		.amdhsa_forward_progress 0
		.amdhsa_shared_vgpr_count 0
		.amdhsa_exception_fp_ieee_invalid_op 0
		.amdhsa_exception_fp_denorm_src 0
		.amdhsa_exception_fp_ieee_div_zero 0
		.amdhsa_exception_fp_ieee_overflow 0
		.amdhsa_exception_fp_ieee_underflow 0
		.amdhsa_exception_fp_ieee_inexact 0
		.amdhsa_exception_int_div_zero 0
	.end_amdhsa_kernel
	.section	.text._ZL35rocblas_iamax_iamin_kernel_part1_64ILi1024E26rocblas_fetch_amax_amin_64IfE22rocblas_reduce_amin_64PKf24rocblas_index_64_value_tIfEEvlT2_lllPT3_,"axG",@progbits,_ZL35rocblas_iamax_iamin_kernel_part1_64ILi1024E26rocblas_fetch_amax_amin_64IfE22rocblas_reduce_amin_64PKf24rocblas_index_64_value_tIfEEvlT2_lllPT3_,comdat
.Lfunc_end10:
	.size	_ZL35rocblas_iamax_iamin_kernel_part1_64ILi1024E26rocblas_fetch_amax_amin_64IfE22rocblas_reduce_amin_64PKf24rocblas_index_64_value_tIfEEvlT2_lllPT3_, .Lfunc_end10-_ZL35rocblas_iamax_iamin_kernel_part1_64ILi1024E26rocblas_fetch_amax_amin_64IfE22rocblas_reduce_amin_64PKf24rocblas_index_64_value_tIfEEvlT2_lllPT3_
                                        ; -- End function
	.section	.AMDGPU.csdata,"",@progbits
; Kernel info:
; codeLenInByte = 2308
; NumSgprs: 26
; NumVgprs: 25
; ScratchSize: 0
; MemoryBound: 0
; FloatMode: 240
; IeeeMode: 1
; LDSByteSize: 512 bytes/workgroup (compile time only)
; SGPRBlocks: 3
; VGPRBlocks: 3
; NumSGPRsForWavesPerEU: 26
; NumVGPRsForWavesPerEU: 25
; Occupancy: 16
; WaveLimiterHint : 0
; COMPUTE_PGM_RSRC2:SCRATCH_EN: 0
; COMPUTE_PGM_RSRC2:USER_SGPR: 14
; COMPUTE_PGM_RSRC2:TRAP_HANDLER: 0
; COMPUTE_PGM_RSRC2:TGID_X_EN: 1
; COMPUTE_PGM_RSRC2:TGID_Y_EN: 0
; COMPUTE_PGM_RSRC2:TGID_Z_EN: 1
; COMPUTE_PGM_RSRC2:TIDIG_COMP_CNT: 0
	.section	.text._ZL35rocblas_iamax_iamin_kernel_part2_64ILi1024E22rocblas_reduce_amin_6424rocblas_index_64_value_tIfElEviPT1_PT2_,"axG",@progbits,_ZL35rocblas_iamax_iamin_kernel_part2_64ILi1024E22rocblas_reduce_amin_6424rocblas_index_64_value_tIfElEviPT1_PT2_,comdat
	.globl	_ZL35rocblas_iamax_iamin_kernel_part2_64ILi1024E22rocblas_reduce_amin_6424rocblas_index_64_value_tIfElEviPT1_PT2_ ; -- Begin function _ZL35rocblas_iamax_iamin_kernel_part2_64ILi1024E22rocblas_reduce_amin_6424rocblas_index_64_value_tIfElEviPT1_PT2_
	.p2align	8
	.type	_ZL35rocblas_iamax_iamin_kernel_part2_64ILi1024E22rocblas_reduce_amin_6424rocblas_index_64_value_tIfElEviPT1_PT2_,@function
_ZL35rocblas_iamax_iamin_kernel_part2_64ILi1024E22rocblas_reduce_amin_6424rocblas_index_64_value_tIfElEviPT1_PT2_: ; @_ZL35rocblas_iamax_iamin_kernel_part2_64ILi1024E22rocblas_reduce_amin_6424rocblas_index_64_value_tIfElEviPT1_PT2_
; %bb.0:
	s_clause 0x1
	s_load_b32 s3, s[0:1], 0x0
	s_load_b128 s[4:7], s[0:1], 0x8
	v_mov_b32_e32 v1, 0
	v_mov_b32_e32 v2, 0
	s_mov_b32 s8, s15
	s_mov_b32 s2, exec_lo
	s_waitcnt lgkmcnt(0)
	v_cmpx_gt_i32_e64 s3, v0
	s_cbranch_execz .LBB11_10
; %bb.1:
	s_mul_hi_u32 s1, s3, s8
	s_mul_i32 s0, s3, s8
	v_lshlrev_b32_e32 v4, 4, v0
	s_lshl_b64 s[0:1], s[0:1], 4
	v_or_b32_e32 v8, 0x400, v0
	s_add_u32 s10, s4, s0
	s_addc_u32 s11, s5, s1
	s_mov_b32 s9, exec_lo
	global_load_b96 v[1:3], v4, s[10:11]
	v_cmpx_gt_u32_e64 s3, v8
	s_cbranch_execz .LBB11_9
; %bb.2:
	s_add_u32 s0, s4, s0
	s_addc_u32 s1, s5, s1
	v_add_co_u32 v4, s0, s0, v4
	s_delay_alu instid0(VALU_DEP_1) | instskip(SKIP_1) | instid1(VALU_DEP_2)
	v_add_co_ci_u32_e64 v5, null, s1, 0, s0
	s_mov_b32 s1, 0
	v_add_co_u32 v4, vcc_lo, 0x4008, v4
	s_delay_alu instid0(VALU_DEP_2)
	v_add_co_ci_u32_e32 v5, vcc_lo, 0, v5, vcc_lo
	s_set_inst_prefetch_distance 0x1
	s_branch .LBB11_5
	.p2align	6
.LBB11_3:                               ;   in Loop: Header=BB11_5 Depth=1
	s_or_b32 exec_lo, exec_lo, s5
	s_delay_alu instid0(VALU_DEP_1)
	v_dual_mov_b32 v1, v6 :: v_dual_mov_b32 v2, v7
	v_mov_b32_e32 v3, v9
.LBB11_4:                               ;   in Loop: Header=BB11_5 Depth=1
	s_or_b32 exec_lo, exec_lo, s4
	v_add_nc_u32_e32 v8, 0x400, v8
	v_add_co_u32 v4, s0, 0x4000, v4
	s_delay_alu instid0(VALU_DEP_1) | instskip(NEXT) | instid1(VALU_DEP_3)
	v_add_co_ci_u32_e64 v5, s0, 0, v5, s0
	v_cmp_le_i32_e32 vcc_lo, s3, v8
	s_or_b32 s1, vcc_lo, s1
	s_delay_alu instid0(SALU_CYCLE_1)
	s_and_not1_b32 exec_lo, exec_lo, s1
	s_cbranch_execz .LBB11_8
.LBB11_5:                               ; =>This Inner Loop Header: Depth=1
	global_load_b64 v[6:7], v[4:5], off offset:-8
	s_mov_b32 s4, exec_lo
	s_waitcnt vmcnt(0)
	v_cmpx_ne_u64_e32 0, v[6:7]
	s_cbranch_execz .LBB11_4
; %bb.6:                                ;   in Loop: Header=BB11_5 Depth=1
	global_load_b32 v9, v[4:5], off
	v_cmp_ne_u64_e32 vcc_lo, 0, v[1:2]
	s_waitcnt vmcnt(0)
	v_cmp_nlt_f32_e64 s0, v9, v3
	s_delay_alu instid0(VALU_DEP_1) | instskip(NEXT) | instid1(SALU_CYCLE_1)
	s_and_b32 s0, vcc_lo, s0
	s_and_saveexec_b32 s5, s0
	s_cbranch_execz .LBB11_3
; %bb.7:                                ;   in Loop: Header=BB11_5 Depth=1
	v_cmp_lt_i64_e32 vcc_lo, v[6:7], v[1:2]
	v_cmp_eq_f32_e64 s0, v3, v9
	v_mov_b32_e32 v9, v3
	v_cndmask_b32_e32 v7, v2, v7, vcc_lo
	s_delay_alu instid0(VALU_DEP_3) | instskip(SKIP_1) | instid1(VALU_DEP_2)
	s_and_b32 vcc_lo, s0, vcc_lo
	v_cndmask_b32_e32 v6, v1, v6, vcc_lo
	v_cndmask_b32_e64 v7, v2, v7, s0
	s_branch .LBB11_3
.LBB11_8:
	s_set_inst_prefetch_distance 0x2
	s_or_b32 exec_lo, exec_lo, s1
.LBB11_9:
	s_delay_alu instid0(SALU_CYCLE_1)
	s_or_b32 exec_lo, exec_lo, s9
.LBB11_10:
	s_delay_alu instid0(SALU_CYCLE_1) | instskip(SKIP_2) | instid1(VALU_DEP_2)
	s_or_b32 exec_lo, exec_lo, s2
	v_and_b32_e32 v12, 31, v0
	v_cmp_gt_u32_e32 vcc_lo, 32, v0
	v_lshlrev_b32_e32 v6, 4, v12
	s_and_saveexec_b32 s0, vcc_lo
	s_cbranch_execz .LBB11_12
; %bb.11:
	v_mov_b32_e32 v4, 0
	s_delay_alu instid0(VALU_DEP_1)
	v_mov_b32_e32 v5, v4
	ds_store_b64 v6, v[4:5]
	ds_store_b32 v6, v4 offset:8
.LBB11_12:
	s_or_b32 exec_lo, exec_lo, s0
	v_mbcnt_lo_u32_b32 v11, -1, 0
	s_mov_b32 s2, exec_lo
	s_waitcnt vmcnt(0) lgkmcnt(0)
	s_barrier
	buffer_gl0_inv
	v_cmp_gt_u32_e64 s0, 16, v11
	v_mov_b32_e32 v13, v3
	s_delay_alu instid0(VALU_DEP_2) | instskip(NEXT) | instid1(VALU_DEP_1)
	v_cndmask_b32_e64 v4, 0, 1, s0
	v_lshlrev_b32_e32 v4, 4, v4
	s_delay_alu instid0(VALU_DEP_1)
	v_add_lshl_u32 v7, v4, v11, 2
	ds_bpermute_b32 v4, v7, v1
	ds_bpermute_b32 v5, v7, v2
	ds_bpermute_b32 v8, v7, v3
	s_waitcnt lgkmcnt(1)
	v_cmpx_ne_u64_e32 0, v[4:5]
	s_cbranch_execz .LBB11_16
; %bb.13:
	v_cmp_ne_u64_e64 s0, 0, v[1:2]
	s_waitcnt lgkmcnt(0)
	v_cmp_ngt_f32_e64 s1, v3, v8
	v_mov_b32_e32 v13, v8
	s_delay_alu instid0(VALU_DEP_2) | instskip(NEXT) | instid1(SALU_CYCLE_1)
	s_and_b32 s0, s0, s1
	s_and_saveexec_b32 s3, s0
; %bb.14:
	v_cmp_lt_i64_e64 s0, v[4:5], v[1:2]
	v_cmp_eq_f32_e64 s1, v3, v8
	v_mov_b32_e32 v13, v3
	v_mov_b32_e32 v8, v3
	s_delay_alu instid0(VALU_DEP_4) | instskip(NEXT) | instid1(VALU_DEP_4)
	v_cndmask_b32_e64 v5, v2, v5, s0
	s_and_b32 s0, s1, s0
	s_delay_alu instid0(SALU_CYCLE_1) | instskip(NEXT) | instid1(VALU_DEP_2)
	v_cndmask_b32_e64 v4, v1, v4, s0
	v_cndmask_b32_e64 v5, v2, v5, s1
; %bb.15:
	s_or_b32 exec_lo, exec_lo, s3
	s_delay_alu instid0(VALU_DEP_2) | instskip(NEXT) | instid1(VALU_DEP_2)
	v_mov_b32_e32 v1, v4
	v_dual_mov_b32 v3, v8 :: v_dual_mov_b32 v2, v5
.LBB11_16:
	s_or_b32 exec_lo, exec_lo, s2
	v_cmp_gt_u32_e64 s0, 24, v11
	s_mov_b32 s2, exec_lo
	s_delay_alu instid0(VALU_DEP_1) | instskip(NEXT) | instid1(VALU_DEP_1)
	v_cndmask_b32_e64 v4, 0, 1, s0
	v_lshlrev_b32_e32 v4, 3, v4
	s_waitcnt lgkmcnt(0)
	s_delay_alu instid0(VALU_DEP_1)
	v_add_lshl_u32 v8, v4, v11, 2
	ds_bpermute_b32 v4, v8, v1
	ds_bpermute_b32 v5, v8, v2
	;; [unrolled: 1-line block ×3, first 2 shown]
	s_waitcnt lgkmcnt(1)
	v_cmpx_ne_u64_e32 0, v[4:5]
	s_cbranch_execz .LBB11_20
; %bb.17:
	v_cmp_ne_u64_e64 s0, 0, v[1:2]
	s_waitcnt lgkmcnt(0)
	v_cmp_ngt_f32_e64 s1, v13, v9
	v_mov_b32_e32 v10, v9
	s_delay_alu instid0(VALU_DEP_2) | instskip(NEXT) | instid1(SALU_CYCLE_1)
	s_and_b32 s0, s0, s1
	s_and_saveexec_b32 s3, s0
; %bb.18:
	v_cmp_lt_i64_e64 s0, v[4:5], v[1:2]
	v_cmp_eq_f32_e64 s1, v13, v9
	v_dual_mov_b32 v10, v13 :: v_dual_mov_b32 v9, v3
	s_delay_alu instid0(VALU_DEP_3) | instskip(NEXT) | instid1(VALU_DEP_3)
	v_cndmask_b32_e64 v5, v2, v5, s0
	s_and_b32 s0, s1, s0
	s_delay_alu instid0(SALU_CYCLE_1) | instskip(NEXT) | instid1(VALU_DEP_2)
	v_cndmask_b32_e64 v4, v1, v4, s0
	v_cndmask_b32_e64 v5, v2, v5, s1
; %bb.19:
	s_or_b32 exec_lo, exec_lo, s3
	v_mov_b32_e32 v3, v9
	s_delay_alu instid0(VALU_DEP_2)
	v_dual_mov_b32 v1, v4 :: v_dual_mov_b32 v2, v5
	v_mov_b32_e32 v13, v10
.LBB11_20:
	s_or_b32 exec_lo, exec_lo, s2
	v_cmp_gt_u32_e64 s0, 28, v11
	s_mov_b32 s2, exec_lo
	s_delay_alu instid0(VALU_DEP_1) | instskip(NEXT) | instid1(VALU_DEP_1)
	v_cndmask_b32_e64 v4, 0, 1, s0
	v_lshlrev_b32_e32 v4, 2, v4
	s_waitcnt lgkmcnt(0)
	s_delay_alu instid0(VALU_DEP_1)
	v_add_lshl_u32 v9, v4, v11, 2
	ds_bpermute_b32 v4, v9, v1
	ds_bpermute_b32 v5, v9, v2
	;; [unrolled: 1-line block ×3, first 2 shown]
	s_waitcnt lgkmcnt(1)
	v_cmpx_ne_u64_e32 0, v[4:5]
	s_cbranch_execz .LBB11_24
; %bb.21:
	v_cmp_ne_u64_e64 s0, 0, v[1:2]
	s_waitcnt lgkmcnt(0)
	v_cmp_ngt_f32_e64 s1, v13, v10
	v_mov_b32_e32 v14, v10
	s_delay_alu instid0(VALU_DEP_2) | instskip(NEXT) | instid1(SALU_CYCLE_1)
	s_and_b32 s0, s0, s1
	s_and_saveexec_b32 s3, s0
; %bb.22:
	v_cmp_lt_i64_e64 s0, v[4:5], v[1:2]
	v_cmp_eq_f32_e64 s1, v13, v10
	v_mov_b32_e32 v14, v13
	v_mov_b32_e32 v10, v3
	s_delay_alu instid0(VALU_DEP_4) | instskip(NEXT) | instid1(VALU_DEP_4)
	v_cndmask_b32_e64 v5, v2, v5, s0
	s_and_b32 s0, s1, s0
	s_delay_alu instid0(SALU_CYCLE_1) | instskip(NEXT) | instid1(VALU_DEP_2)
	v_cndmask_b32_e64 v4, v1, v4, s0
	v_cndmask_b32_e64 v5, v2, v5, s1
; %bb.23:
	s_or_b32 exec_lo, exec_lo, s3
	s_delay_alu instid0(VALU_DEP_2) | instskip(NEXT) | instid1(VALU_DEP_2)
	v_mov_b32_e32 v1, v4
	v_dual_mov_b32 v3, v10 :: v_dual_mov_b32 v2, v5
	v_mov_b32_e32 v13, v14
.LBB11_24:
	s_or_b32 exec_lo, exec_lo, s2
	v_cmp_gt_u32_e64 s0, 30, v11
	s_mov_b32 s2, exec_lo
	s_delay_alu instid0(VALU_DEP_1) | instskip(NEXT) | instid1(VALU_DEP_1)
	v_cndmask_b32_e64 v4, 0, 1, s0
	v_lshlrev_b32_e32 v4, 1, v4
	s_waitcnt lgkmcnt(0)
	s_delay_alu instid0(VALU_DEP_1)
	v_add_lshl_u32 v10, v4, v11, 2
	ds_bpermute_b32 v4, v10, v1
	ds_bpermute_b32 v5, v10, v2
	;; [unrolled: 1-line block ×3, first 2 shown]
	s_waitcnt lgkmcnt(1)
	v_cmpx_ne_u64_e32 0, v[4:5]
	s_cbranch_execz .LBB11_28
; %bb.25:
	v_cmp_ne_u64_e64 s0, 0, v[1:2]
	s_waitcnt lgkmcnt(0)
	v_cmp_ngt_f32_e64 s1, v13, v14
	v_mov_b32_e32 v15, v14
	s_delay_alu instid0(VALU_DEP_2) | instskip(NEXT) | instid1(SALU_CYCLE_1)
	s_and_b32 s0, s0, s1
	s_and_saveexec_b32 s3, s0
; %bb.26:
	v_cmp_lt_i64_e64 s0, v[4:5], v[1:2]
	v_cmp_eq_f32_e64 s1, v13, v14
	v_dual_mov_b32 v15, v13 :: v_dual_mov_b32 v14, v3
	s_delay_alu instid0(VALU_DEP_3) | instskip(NEXT) | instid1(VALU_DEP_3)
	v_cndmask_b32_e64 v5, v2, v5, s0
	s_and_b32 s0, s1, s0
	s_delay_alu instid0(SALU_CYCLE_1) | instskip(NEXT) | instid1(VALU_DEP_2)
	v_cndmask_b32_e64 v4, v1, v4, s0
	v_cndmask_b32_e64 v5, v2, v5, s1
; %bb.27:
	s_or_b32 exec_lo, exec_lo, s3
	s_delay_alu instid0(VALU_DEP_2) | instskip(NEXT) | instid1(VALU_DEP_2)
	v_mov_b32_e32 v1, v4
	v_dual_mov_b32 v3, v14 :: v_dual_mov_b32 v2, v5
	v_mov_b32_e32 v13, v15
.LBB11_28:
	s_or_b32 exec_lo, exec_lo, s2
	v_cmp_ne_u32_e64 s0, 31, v11
	s_mov_b32 s4, exec_lo
	s_delay_alu instid0(VALU_DEP_1) | instskip(NEXT) | instid1(VALU_DEP_1)
	v_add_co_ci_u32_e64 v4, s0, 0, v11, s0
	v_lshlrev_b32_e32 v11, 2, v4
	ds_bpermute_b32 v4, v11, v1
	ds_bpermute_b32 v5, v11, v2
	;; [unrolled: 1-line block ×3, first 2 shown]
	s_waitcnt lgkmcnt(1)
	v_cmpx_ne_u64_e32 0, v[4:5]
	s_cbranch_execz .LBB11_30
; %bb.29:
	v_cmp_lt_i64_e64 s0, v[4:5], v[1:2]
	s_waitcnt lgkmcnt(0)
	v_cmp_eq_f32_e64 s1, v13, v3
	v_cmp_eq_u64_e64 s2, 0, v[1:2]
	v_cmp_gt_f32_e64 s3, v13, v3
	s_delay_alu instid0(VALU_DEP_3) | instskip(NEXT) | instid1(VALU_DEP_1)
	s_and_b32 s0, s1, s0
	s_or_b32 s1, s2, s3
	v_cndmask_b32_e64 v2, v2, v5, s0
	s_or_b32 s0, s1, s0
	v_cndmask_b32_e64 v13, v13, v3, s1
	v_cndmask_b32_e64 v1, v1, v4, s0
	s_delay_alu instid0(VALU_DEP_3)
	v_cndmask_b32_e64 v2, v2, v5, s1
.LBB11_30:
	s_or_b32 exec_lo, exec_lo, s4
	s_delay_alu instid0(SALU_CYCLE_1)
	s_mov_b32 s1, exec_lo
	v_cmpx_eq_u32_e32 0, v12
	s_cbranch_execz .LBB11_32
; %bb.31:
	s_waitcnt lgkmcnt(0)
	v_lshrrev_b32_e32 v3, 1, v0
	s_delay_alu instid0(VALU_DEP_1)
	v_and_b32_e32 v3, 0x1f0, v3
	ds_store_b64 v3, v[1:2]
	ds_store_b32 v3, v13 offset:8
.LBB11_32:
	s_or_b32 exec_lo, exec_lo, s1
	v_mov_b32_e32 v1, 0
	v_dual_mov_b32 v2, 0 :: v_dual_mov_b32 v5, 0
	s_waitcnt lgkmcnt(0)
	s_barrier
	buffer_gl0_inv
	s_and_saveexec_b32 s0, vcc_lo
	s_cbranch_execz .LBB11_34
; %bb.33:
	ds_load_b64 v[1:2], v6
	ds_load_b32 v5, v6 offset:8
.LBB11_34:
	s_or_b32 exec_lo, exec_lo, s0
	s_and_saveexec_b32 s3, vcc_lo
	s_cbranch_execz .LBB11_54
; %bb.35:
	s_waitcnt lgkmcnt(1)
	ds_bpermute_b32 v3, v7, v1
	ds_bpermute_b32 v4, v7, v2
	s_waitcnt lgkmcnt(2)
	ds_bpermute_b32 v7, v7, v5
	v_mov_b32_e32 v6, v5
	s_mov_b32 s1, exec_lo
	s_waitcnt lgkmcnt(1)
	v_cmpx_ne_u64_e32 0, v[3:4]
	s_cbranch_execz .LBB11_39
; %bb.36:
	v_cmp_ne_u64_e32 vcc_lo, 0, v[1:2]
	s_waitcnt lgkmcnt(0)
	v_cmp_ngt_f32_e64 s0, v5, v7
	s_delay_alu instid0(VALU_DEP_1) | instskip(NEXT) | instid1(SALU_CYCLE_1)
	s_and_b32 s0, vcc_lo, s0
	s_and_saveexec_b32 s2, s0
; %bb.37:
	v_cmp_lt_i64_e32 vcc_lo, v[3:4], v[1:2]
	v_cmp_eq_f32_e64 s0, v5, v7
	v_dual_mov_b32 v7, v5 :: v_dual_cndmask_b32 v4, v2, v4
	s_delay_alu instid0(VALU_DEP_2) | instskip(SKIP_1) | instid1(VALU_DEP_2)
	s_and_b32 vcc_lo, s0, vcc_lo
	v_cndmask_b32_e32 v3, v1, v3, vcc_lo
	v_cndmask_b32_e64 v4, v2, v4, s0
; %bb.38:
	s_or_b32 exec_lo, exec_lo, s2
	s_delay_alu instid0(VALU_DEP_2) | instskip(NEXT) | instid1(VALU_DEP_2)
	v_mov_b32_e32 v1, v3
	v_dual_mov_b32 v5, v7 :: v_dual_mov_b32 v2, v4
	v_mov_b32_e32 v6, v7
.LBB11_39:
	s_or_b32 exec_lo, exec_lo, s1
	ds_bpermute_b32 v3, v8, v1
	ds_bpermute_b32 v4, v8, v2
	s_waitcnt lgkmcnt(2)
	ds_bpermute_b32 v7, v8, v5
	s_mov_b32 s1, exec_lo
	s_waitcnt lgkmcnt(1)
	v_cmpx_ne_u64_e32 0, v[3:4]
	s_cbranch_execz .LBB11_43
; %bb.40:
	v_cmp_ne_u64_e32 vcc_lo, 0, v[1:2]
	s_waitcnt lgkmcnt(0)
	v_cmp_ngt_f32_e64 s0, v6, v7
	v_mov_b32_e32 v8, v7
	s_delay_alu instid0(VALU_DEP_2) | instskip(NEXT) | instid1(SALU_CYCLE_1)
	s_and_b32 s0, vcc_lo, s0
	s_and_saveexec_b32 s2, s0
; %bb.41:
	v_cmp_lt_i64_e32 vcc_lo, v[3:4], v[1:2]
	v_cmp_eq_f32_e64 s0, v6, v7
	v_dual_mov_b32 v8, v6 :: v_dual_mov_b32 v7, v5
	v_cndmask_b32_e32 v4, v2, v4, vcc_lo
	s_delay_alu instid0(VALU_DEP_3) | instskip(SKIP_1) | instid1(VALU_DEP_2)
	s_and_b32 vcc_lo, s0, vcc_lo
	v_cndmask_b32_e32 v3, v1, v3, vcc_lo
	v_cndmask_b32_e64 v4, v2, v4, s0
; %bb.42:
	s_or_b32 exec_lo, exec_lo, s2
	s_delay_alu instid0(VALU_DEP_2) | instskip(NEXT) | instid1(VALU_DEP_2)
	v_dual_mov_b32 v1, v3 :: v_dual_mov_b32 v6, v8
	v_dual_mov_b32 v5, v7 :: v_dual_mov_b32 v2, v4
.LBB11_43:
	s_or_b32 exec_lo, exec_lo, s1
	ds_bpermute_b32 v3, v9, v1
	ds_bpermute_b32 v4, v9, v2
	s_waitcnt lgkmcnt(2)
	ds_bpermute_b32 v7, v9, v5
	s_mov_b32 s1, exec_lo
	s_waitcnt lgkmcnt(1)
	v_cmpx_ne_u64_e32 0, v[3:4]
	s_cbranch_execz .LBB11_47
; %bb.44:
	v_cmp_ne_u64_e32 vcc_lo, 0, v[1:2]
	s_waitcnt lgkmcnt(0)
	v_cmp_ngt_f32_e64 s0, v6, v7
	v_mov_b32_e32 v8, v7
	s_delay_alu instid0(VALU_DEP_2) | instskip(NEXT) | instid1(SALU_CYCLE_1)
	s_and_b32 s0, vcc_lo, s0
	s_and_saveexec_b32 s2, s0
; %bb.45:
	v_cmp_lt_i64_e32 vcc_lo, v[3:4], v[1:2]
	v_cmp_eq_f32_e64 s0, v6, v7
	v_dual_mov_b32 v8, v6 :: v_dual_mov_b32 v7, v5
	v_cndmask_b32_e32 v4, v2, v4, vcc_lo
	s_delay_alu instid0(VALU_DEP_3) | instskip(SKIP_1) | instid1(VALU_DEP_2)
	s_and_b32 vcc_lo, s0, vcc_lo
	v_cndmask_b32_e32 v3, v1, v3, vcc_lo
	v_cndmask_b32_e64 v4, v2, v4, s0
; %bb.46:
	s_or_b32 exec_lo, exec_lo, s2
	s_delay_alu instid0(VALU_DEP_2) | instskip(NEXT) | instid1(VALU_DEP_2)
	v_dual_mov_b32 v1, v3 :: v_dual_mov_b32 v6, v8
	v_dual_mov_b32 v5, v7 :: v_dual_mov_b32 v2, v4
.LBB11_47:
	;; [unrolled: 32-line block ×3, first 2 shown]
	s_or_b32 exec_lo, exec_lo, s1
	ds_bpermute_b32 v3, v11, v1
	ds_bpermute_b32 v4, v11, v2
	;; [unrolled: 1-line block ×3, first 2 shown]
	s_mov_b32 s4, exec_lo
	s_waitcnt lgkmcnt(1)
	v_cmpx_ne_u64_e32 0, v[3:4]
	s_cbranch_execz .LBB11_53
; %bb.52:
	v_cmp_lt_i64_e32 vcc_lo, v[3:4], v[1:2]
	s_waitcnt lgkmcnt(0)
	v_cmp_eq_f32_e64 s0, v6, v5
	v_cmp_eq_u64_e64 s1, 0, v[1:2]
	v_cmp_gt_f32_e64 s2, v6, v5
	s_delay_alu instid0(VALU_DEP_3) | instskip(NEXT) | instid1(VALU_DEP_1)
	s_and_b32 vcc_lo, s0, vcc_lo
	s_or_b32 s0, s1, s2
	v_cndmask_b32_e32 v2, v2, v4, vcc_lo
	s_or_b32 vcc_lo, s0, vcc_lo
	v_cndmask_b32_e32 v1, v1, v3, vcc_lo
	s_delay_alu instid0(VALU_DEP_2)
	v_cndmask_b32_e64 v2, v2, v4, s0
.LBB11_53:
	s_or_b32 exec_lo, exec_lo, s4
.LBB11_54:
	s_delay_alu instid0(SALU_CYCLE_1)
	s_or_b32 exec_lo, exec_lo, s3
	s_mov_b32 s9, 0
	s_mov_b32 s0, exec_lo
	v_cmpx_eq_u32_e32 0, v0
	s_cbranch_execz .LBB11_56
; %bb.55:
	s_lshl_b64 s[0:1], s[8:9], 3
	v_mov_b32_e32 v0, 0
	s_add_u32 s0, s6, s0
	s_addc_u32 s1, s7, s1
	s_waitcnt lgkmcnt(1)
	global_store_b64 v0, v[1:2], s[0:1]
.LBB11_56:
	s_nop 0
	s_sendmsg sendmsg(MSG_DEALLOC_VGPRS)
	s_endpgm
	.section	.rodata,"a",@progbits
	.p2align	6, 0x0
	.amdhsa_kernel _ZL35rocblas_iamax_iamin_kernel_part2_64ILi1024E22rocblas_reduce_amin_6424rocblas_index_64_value_tIfElEviPT1_PT2_
		.amdhsa_group_segment_fixed_size 512
		.amdhsa_private_segment_fixed_size 0
		.amdhsa_kernarg_size 24
		.amdhsa_user_sgpr_count 15
		.amdhsa_user_sgpr_dispatch_ptr 0
		.amdhsa_user_sgpr_queue_ptr 0
		.amdhsa_user_sgpr_kernarg_segment_ptr 1
		.amdhsa_user_sgpr_dispatch_id 0
		.amdhsa_user_sgpr_private_segment_size 0
		.amdhsa_wavefront_size32 1
		.amdhsa_uses_dynamic_stack 0
		.amdhsa_enable_private_segment 0
		.amdhsa_system_sgpr_workgroup_id_x 1
		.amdhsa_system_sgpr_workgroup_id_y 0
		.amdhsa_system_sgpr_workgroup_id_z 0
		.amdhsa_system_sgpr_workgroup_info 0
		.amdhsa_system_vgpr_workitem_id 0
		.amdhsa_next_free_vgpr 16
		.amdhsa_next_free_sgpr 16
		.amdhsa_reserve_vcc 1
		.amdhsa_float_round_mode_32 0
		.amdhsa_float_round_mode_16_64 0
		.amdhsa_float_denorm_mode_32 3
		.amdhsa_float_denorm_mode_16_64 3
		.amdhsa_dx10_clamp 1
		.amdhsa_ieee_mode 1
		.amdhsa_fp16_overflow 0
		.amdhsa_workgroup_processor_mode 1
		.amdhsa_memory_ordered 1
		.amdhsa_forward_progress 0
		.amdhsa_shared_vgpr_count 0
		.amdhsa_exception_fp_ieee_invalid_op 0
		.amdhsa_exception_fp_denorm_src 0
		.amdhsa_exception_fp_ieee_div_zero 0
		.amdhsa_exception_fp_ieee_overflow 0
		.amdhsa_exception_fp_ieee_underflow 0
		.amdhsa_exception_fp_ieee_inexact 0
		.amdhsa_exception_int_div_zero 0
	.end_amdhsa_kernel
	.section	.text._ZL35rocblas_iamax_iamin_kernel_part2_64ILi1024E22rocblas_reduce_amin_6424rocblas_index_64_value_tIfElEviPT1_PT2_,"axG",@progbits,_ZL35rocblas_iamax_iamin_kernel_part2_64ILi1024E22rocblas_reduce_amin_6424rocblas_index_64_value_tIfElEviPT1_PT2_,comdat
.Lfunc_end11:
	.size	_ZL35rocblas_iamax_iamin_kernel_part2_64ILi1024E22rocblas_reduce_amin_6424rocblas_index_64_value_tIfElEviPT1_PT2_, .Lfunc_end11-_ZL35rocblas_iamax_iamin_kernel_part2_64ILi1024E22rocblas_reduce_amin_6424rocblas_index_64_value_tIfElEviPT1_PT2_
                                        ; -- End function
	.section	.AMDGPU.csdata,"",@progbits
; Kernel info:
; codeLenInByte = 2308
; NumSgprs: 18
; NumVgprs: 16
; ScratchSize: 0
; MemoryBound: 0
; FloatMode: 240
; IeeeMode: 1
; LDSByteSize: 512 bytes/workgroup (compile time only)
; SGPRBlocks: 2
; VGPRBlocks: 1
; NumSGPRsForWavesPerEU: 18
; NumVGPRsForWavesPerEU: 16
; Occupancy: 16
; WaveLimiterHint : 0
; COMPUTE_PGM_RSRC2:SCRATCH_EN: 0
; COMPUTE_PGM_RSRC2:USER_SGPR: 15
; COMPUTE_PGM_RSRC2:TRAP_HANDLER: 0
; COMPUTE_PGM_RSRC2:TGID_X_EN: 1
; COMPUTE_PGM_RSRC2:TGID_Y_EN: 0
; COMPUTE_PGM_RSRC2:TGID_Z_EN: 0
; COMPUTE_PGM_RSRC2:TIDIG_COMP_CNT: 0
	.section	.text._ZL35rocblas_iamax_iamin_kernel_part1_64ILi1024E26rocblas_fetch_amax_amin_64IdE22rocblas_reduce_amin_64PKd24rocblas_index_64_value_tIdEEvlT2_lllPT3_,"axG",@progbits,_ZL35rocblas_iamax_iamin_kernel_part1_64ILi1024E26rocblas_fetch_amax_amin_64IdE22rocblas_reduce_amin_64PKd24rocblas_index_64_value_tIdEEvlT2_lllPT3_,comdat
	.globl	_ZL35rocblas_iamax_iamin_kernel_part1_64ILi1024E26rocblas_fetch_amax_amin_64IdE22rocblas_reduce_amin_64PKd24rocblas_index_64_value_tIdEEvlT2_lllPT3_ ; -- Begin function _ZL35rocblas_iamax_iamin_kernel_part1_64ILi1024E26rocblas_fetch_amax_amin_64IdE22rocblas_reduce_amin_64PKd24rocblas_index_64_value_tIdEEvlT2_lllPT3_
	.p2align	8
	.type	_ZL35rocblas_iamax_iamin_kernel_part1_64ILi1024E26rocblas_fetch_amax_amin_64IdE22rocblas_reduce_amin_64PKd24rocblas_index_64_value_tIdEEvlT2_lllPT3_,@function
_ZL35rocblas_iamax_iamin_kernel_part1_64ILi1024E26rocblas_fetch_amax_amin_64IdE22rocblas_reduce_amin_64PKd24rocblas_index_64_value_tIdEEvlT2_lllPT3_: ; @_ZL35rocblas_iamax_iamin_kernel_part1_64ILi1024E26rocblas_fetch_amax_amin_64IdE22rocblas_reduce_amin_64PKd24rocblas_index_64_value_tIdEEvlT2_lllPT3_
; %bb.0:
	s_clause 0x1
	s_load_b256 s[16:23], s[0:1], 0x0
	s_load_b128 s[8:11], s[0:1], 0x20
	s_mov_b32 s2, s15
	s_waitcnt lgkmcnt(0)
	v_cmp_lt_i64_e64 s3, s[16:17], 1
	s_delay_alu instid0(VALU_DEP_1)
	s_and_b32 vcc_lo, exec_lo, s3
	s_cbranch_vccnz .LBB12_53
; %bb.1:
	v_mbcnt_lo_u32_b32 v3, -1, 0
	v_lshl_or_b32 v23, s14, 10, v0
	s_load_b32 s5, s[0:1], 0x30
	s_mul_i32 s6, s9, s2
	s_mul_hi_u32 s7, s8, s2
	v_cmp_gt_u32_e32 vcc_lo, 16, v3
	s_add_i32 s7, s7, s6
	s_mul_i32 s6, s8, s2
	s_lshl_b64 s[8:9], s[20:21], 3
	s_lshl_b64 s[6:7], s[6:7], 3
	v_cndmask_b32_e64 v1, 0, 1, vcc_lo
	v_cmp_gt_u32_e32 vcc_lo, 24, v3
	v_cmp_gt_u32_e64 s3, 32, v0
	s_mov_b64 s[12:13], 0
                                        ; implicit-def: $vgpr9_vgpr10
	v_mov_b32_e32 v15, 0
	v_dual_mov_b32 v16, 0 :: v_dual_lshlrev_b32 v1, 4, v1
	v_cndmask_b32_e64 v2, 0, 1, vcc_lo
	v_cmp_gt_u32_e32 vcc_lo, 28, v3
	s_delay_alu instid0(VALU_DEP_3) | instskip(NEXT) | instid1(VALU_DEP_3)
	v_add_lshl_u32 v25, v1, v3, 2
	v_lshlrev_b32_e32 v2, 3, v2
	v_cndmask_b32_e64 v4, 0, 1, vcc_lo
	v_cmp_gt_u32_e32 vcc_lo, 30, v3
	s_waitcnt lgkmcnt(0)
	s_lshl_b32 s15, s5, 10
	s_add_u32 s5, s18, s8
	v_add_lshl_u32 v26, v2, v3, 2
	v_lshlrev_b32_e32 v4, 2, v4
	v_cndmask_b32_e64 v6, 0, 1, vcc_lo
	v_mad_u64_u32 v[1:2], null, s22, v23, 0
	v_cmp_ne_u32_e32 vcc_lo, 31, v3
	s_delay_alu instid0(VALU_DEP_4) | instskip(NEXT) | instid1(VALU_DEP_4)
	v_add_lshl_u32 v27, v4, v3, 2
	v_lshlrev_b32_e32 v6, 1, v6
	s_addc_u32 s8, s19, s9
	s_add_u32 s5, s5, s6
	v_add_co_ci_u32_e32 v7, vcc_lo, 0, v3, vcc_lo
	s_delay_alu instid0(VALU_DEP_2)
	v_add_lshl_u32 v28, v6, v3, 2
	v_mad_u64_u32 v[3:4], null, s23, v23, v[2:3]
	v_and_b32_e32 v5, 31, v0
	v_lshrrev_b32_e32 v6, 1, v0
	s_addc_u32 s6, s8, s7
	v_cmp_ne_u32_e32 vcc_lo, 0, v0
	s_mul_i32 s7, s23, s15
	s_mul_hi_u32 s8, s22, s15
	s_delay_alu instid0(VALU_DEP_4)
	v_mov_b32_e32 v2, v3
	v_lshlrev_b32_e32 v24, 4, v5
	v_lshlrev_b32_e32 v29, 2, v7
	v_cmp_eq_u32_e64 s4, 0, v5
	v_and_b32_e32 v30, 0x1f0, v6
	v_lshlrev_b64 v[1:2], 3, v[1:2]
	v_mov_b32_e32 v5, 0
	s_add_i32 s7, s8, s7
	s_xor_b32 s18, vcc_lo, -1
	s_delay_alu instid0(VALU_DEP_2) | instskip(NEXT) | instid1(VALU_DEP_1)
	v_add_co_u32 v17, s5, s5, v1
	v_add_co_ci_u32_e64 v18, s5, s6, v2, s5
	v_dual_mov_b32 v1, v15 :: v_dual_mov_b32 v2, v16
	s_mul_i32 s6, s22, s15
	s_delay_alu instid0(SALU_CYCLE_1)
	s_lshl_b64 s[8:9], s[6:7], 3
	s_branch .LBB12_4
.LBB12_2:                               ;   in Loop: Header=BB12_4 Depth=1
	s_or_b32 exec_lo, exec_lo, s7
	s_delay_alu instid0(VALU_DEP_1)
	v_dual_mov_b32 v1, v7 :: v_dual_mov_b32 v2, v8
	v_dual_mov_b32 v3, v11 :: v_dual_mov_b32 v4, v12
.LBB12_3:                               ;   in Loop: Header=BB12_4 Depth=1
	s_or_b32 exec_lo, exec_lo, s6
	s_add_u32 s12, s12, s15
	s_addc_u32 s13, s13, 0
	v_add_co_u32 v17, vcc_lo, v17, s8
	v_cmp_ge_i64_e64 s5, s[12:13], s[16:17]
	v_add_co_ci_u32_e32 v18, vcc_lo, s9, v18, vcc_lo
	s_delay_alu instid0(VALU_DEP_2)
	s_and_b32 vcc_lo, exec_lo, s5
	s_cbranch_vccnz .LBB12_54
.LBB12_4:                               ; =>This Inner Loop Header: Depth=1
	v_add_co_u32 v6, s5, v23, s12
	s_delay_alu instid0(VALU_DEP_1) | instskip(SKIP_2) | instid1(VALU_DEP_2)
	v_add_co_ci_u32_e64 v7, null, 0, s13, s5
	v_dual_mov_b32 v11, v15 :: v_dual_mov_b32 v12, v16
	s_mov_b32 s6, exec_lo
	v_cmpx_gt_i64_e64 s[16:17], v[6:7]
	s_cbranch_execz .LBB12_6
; %bb.5:                                ;   in Loop: Header=BB12_4 Depth=1
	global_load_b64 v[8:9], v[17:18], off
	v_add_co_u32 v11, s5, v6, 1
	s_delay_alu instid0(VALU_DEP_1) | instskip(SKIP_3) | instid1(VALU_DEP_1)
	v_add_co_ci_u32_e64 v12, s5, 0, v7, s5
	s_waitcnt vmcnt(0)
	v_cmp_gt_f64_e32 vcc_lo, 0, v[8:9]
	v_xor_b32_e32 v10, 0x80000000, v9
	v_dual_cndmask_b32 v10, v9, v10 :: v_dual_cndmask_b32 v9, v8, v8
.LBB12_6:                               ;   in Loop: Header=BB12_4 Depth=1
	s_or_b32 exec_lo, exec_lo, s6
	s_and_saveexec_b32 s5, s3
	s_cbranch_execz .LBB12_8
; %bb.7:                                ;   in Loop: Header=BB12_4 Depth=1
	v_mov_b32_e32 v6, v5
	v_mov_b32_e32 v7, v5
	;; [unrolled: 1-line block ×3, first 2 shown]
	ds_store_b128 v24, v[5:8]
.LBB12_8:                               ;   in Loop: Header=BB12_4 Depth=1
	s_or_b32 exec_lo, exec_lo, s5
	ds_bpermute_b32 v6, v25, v11
	ds_bpermute_b32 v7, v25, v12
	;; [unrolled: 1-line block ×4, first 2 shown]
	v_dual_mov_b32 v14, v10 :: v_dual_mov_b32 v13, v9
	s_mov_b32 s6, exec_lo
	s_waitcnt lgkmcnt(0)
	s_barrier
	buffer_gl0_inv
	v_cmpx_ne_u64_e32 0, v[6:7]
	s_cbranch_execz .LBB12_12
; %bb.9:                                ;   in Loop: Header=BB12_4 Depth=1
	v_cmp_ngt_f64_e32 vcc_lo, v[9:10], v[19:20]
	v_cmp_ne_u64_e64 s5, 0, v[11:12]
	v_dual_mov_b32 v13, v19 :: v_dual_mov_b32 v14, v20
	s_delay_alu instid0(VALU_DEP_2) | instskip(NEXT) | instid1(SALU_CYCLE_1)
	s_and_b32 s5, s5, vcc_lo
	s_and_saveexec_b32 s7, s5
; %bb.10:                               ;   in Loop: Header=BB12_4 Depth=1
	v_cmp_eq_f64_e64 s5, v[9:10], v[19:20]
	v_cmp_lt_i64_e32 vcc_lo, v[6:7], v[11:12]
	v_dual_mov_b32 v19, v9 :: v_dual_mov_b32 v20, v10
	v_dual_mov_b32 v14, v10 :: v_dual_cndmask_b32 v7, v12, v7
	s_delay_alu instid0(VALU_DEP_4) | instskip(SKIP_1) | instid1(VALU_DEP_2)
	s_and_b32 vcc_lo, s5, vcc_lo
	v_dual_mov_b32 v13, v9 :: v_dual_cndmask_b32 v6, v11, v6
	v_cndmask_b32_e64 v7, v12, v7, s5
; %bb.11:                               ;   in Loop: Header=BB12_4 Depth=1
	s_or_b32 exec_lo, exec_lo, s7
	v_dual_mov_b32 v10, v20 :: v_dual_mov_b32 v9, v19
	s_delay_alu instid0(VALU_DEP_2)
	v_dual_mov_b32 v12, v7 :: v_dual_mov_b32 v11, v6
.LBB12_12:                              ;   in Loop: Header=BB12_4 Depth=1
	s_or_b32 exec_lo, exec_lo, s6
	ds_bpermute_b32 v6, v26, v11
	ds_bpermute_b32 v7, v26, v12
	;; [unrolled: 1-line block ×4, first 2 shown]
	s_mov_b32 s6, exec_lo
	s_waitcnt lgkmcnt(2)
	v_cmpx_ne_u64_e32 0, v[6:7]
	s_cbranch_execz .LBB12_16
; %bb.13:                               ;   in Loop: Header=BB12_4 Depth=1
	s_waitcnt lgkmcnt(0)
	v_cmp_ngt_f64_e32 vcc_lo, v[13:14], v[19:20]
	v_cmp_ne_u64_e64 s5, 0, v[11:12]
	v_dual_mov_b32 v22, v20 :: v_dual_mov_b32 v21, v19
	s_delay_alu instid0(VALU_DEP_2) | instskip(NEXT) | instid1(SALU_CYCLE_1)
	s_and_b32 s5, s5, vcc_lo
	s_and_saveexec_b32 s7, s5
; %bb.14:                               ;   in Loop: Header=BB12_4 Depth=1
	v_cmp_eq_f64_e64 s5, v[13:14], v[19:20]
	v_cmp_lt_i64_e32 vcc_lo, v[6:7], v[11:12]
	v_dual_mov_b32 v19, v9 :: v_dual_mov_b32 v20, v10
	v_dual_mov_b32 v22, v14 :: v_dual_cndmask_b32 v7, v12, v7
	s_delay_alu instid0(VALU_DEP_4) | instskip(SKIP_1) | instid1(VALU_DEP_2)
	s_and_b32 vcc_lo, s5, vcc_lo
	v_dual_mov_b32 v21, v13 :: v_dual_cndmask_b32 v6, v11, v6
	v_cndmask_b32_e64 v7, v12, v7, s5
; %bb.15:                               ;   in Loop: Header=BB12_4 Depth=1
	s_or_b32 exec_lo, exec_lo, s7
	v_dual_mov_b32 v10, v20 :: v_dual_mov_b32 v9, v19
	s_delay_alu instid0(VALU_DEP_2)
	v_dual_mov_b32 v12, v7 :: v_dual_mov_b32 v11, v6
	v_dual_mov_b32 v13, v21 :: v_dual_mov_b32 v14, v22
.LBB12_16:                              ;   in Loop: Header=BB12_4 Depth=1
	s_or_b32 exec_lo, exec_lo, s6
	ds_bpermute_b32 v6, v27, v11
	ds_bpermute_b32 v7, v27, v12
	s_waitcnt lgkmcnt(3)
	ds_bpermute_b32 v19, v27, v9
	s_waitcnt lgkmcnt(3)
	ds_bpermute_b32 v20, v27, v10
	s_mov_b32 s6, exec_lo
	s_waitcnt lgkmcnt(2)
	v_cmpx_ne_u64_e32 0, v[6:7]
	s_cbranch_execz .LBB12_20
; %bb.17:                               ;   in Loop: Header=BB12_4 Depth=1
	s_waitcnt lgkmcnt(0)
	v_cmp_ngt_f64_e32 vcc_lo, v[13:14], v[19:20]
	v_cmp_ne_u64_e64 s5, 0, v[11:12]
	v_dual_mov_b32 v22, v20 :: v_dual_mov_b32 v21, v19
	s_delay_alu instid0(VALU_DEP_2) | instskip(NEXT) | instid1(SALU_CYCLE_1)
	s_and_b32 s5, s5, vcc_lo
	s_and_saveexec_b32 s7, s5
; %bb.18:                               ;   in Loop: Header=BB12_4 Depth=1
	v_cmp_eq_f64_e64 s5, v[13:14], v[19:20]
	v_cmp_lt_i64_e32 vcc_lo, v[6:7], v[11:12]
	v_dual_mov_b32 v19, v9 :: v_dual_mov_b32 v20, v10
	v_dual_mov_b32 v22, v14 :: v_dual_cndmask_b32 v7, v12, v7
	s_delay_alu instid0(VALU_DEP_4) | instskip(SKIP_1) | instid1(VALU_DEP_2)
	s_and_b32 vcc_lo, s5, vcc_lo
	v_dual_mov_b32 v21, v13 :: v_dual_cndmask_b32 v6, v11, v6
	v_cndmask_b32_e64 v7, v12, v7, s5
; %bb.19:                               ;   in Loop: Header=BB12_4 Depth=1
	s_or_b32 exec_lo, exec_lo, s7
	v_dual_mov_b32 v10, v20 :: v_dual_mov_b32 v9, v19
	s_delay_alu instid0(VALU_DEP_2)
	v_dual_mov_b32 v12, v7 :: v_dual_mov_b32 v11, v6
	v_dual_mov_b32 v13, v21 :: v_dual_mov_b32 v14, v22
.LBB12_20:                              ;   in Loop: Header=BB12_4 Depth=1
	s_or_b32 exec_lo, exec_lo, s6
	ds_bpermute_b32 v6, v28, v11
	ds_bpermute_b32 v7, v28, v12
	s_waitcnt lgkmcnt(3)
	ds_bpermute_b32 v19, v28, v9
	s_waitcnt lgkmcnt(3)
	ds_bpermute_b32 v20, v28, v10
	s_mov_b32 s6, exec_lo
	s_waitcnt lgkmcnt(2)
	v_cmpx_ne_u64_e32 0, v[6:7]
	s_cbranch_execz .LBB12_24
; %bb.21:                               ;   in Loop: Header=BB12_4 Depth=1
	s_waitcnt lgkmcnt(0)
	v_cmp_ngt_f64_e32 vcc_lo, v[13:14], v[19:20]
	v_cmp_ne_u64_e64 s5, 0, v[11:12]
	v_dual_mov_b32 v22, v20 :: v_dual_mov_b32 v21, v19
	s_delay_alu instid0(VALU_DEP_2) | instskip(NEXT) | instid1(SALU_CYCLE_1)
	s_and_b32 s5, s5, vcc_lo
	s_and_saveexec_b32 s7, s5
; %bb.22:                               ;   in Loop: Header=BB12_4 Depth=1
	v_cmp_eq_f64_e64 s5, v[13:14], v[19:20]
	v_cmp_lt_i64_e32 vcc_lo, v[6:7], v[11:12]
	v_dual_mov_b32 v19, v9 :: v_dual_mov_b32 v20, v10
	v_dual_mov_b32 v22, v14 :: v_dual_cndmask_b32 v7, v12, v7
	s_delay_alu instid0(VALU_DEP_4) | instskip(SKIP_1) | instid1(VALU_DEP_2)
	s_and_b32 vcc_lo, s5, vcc_lo
	v_dual_mov_b32 v21, v13 :: v_dual_cndmask_b32 v6, v11, v6
	v_cndmask_b32_e64 v7, v12, v7, s5
; %bb.23:                               ;   in Loop: Header=BB12_4 Depth=1
	s_or_b32 exec_lo, exec_lo, s7
	v_dual_mov_b32 v10, v20 :: v_dual_mov_b32 v9, v19
	s_delay_alu instid0(VALU_DEP_2)
	v_dual_mov_b32 v12, v7 :: v_dual_mov_b32 v11, v6
	v_dual_mov_b32 v13, v21 :: v_dual_mov_b32 v14, v22
.LBB12_24:                              ;   in Loop: Header=BB12_4 Depth=1
	s_or_b32 exec_lo, exec_lo, s6
	s_waitcnt lgkmcnt(1)
	ds_bpermute_b32 v19, v29, v11
	s_waitcnt lgkmcnt(1)
	ds_bpermute_b32 v20, v29, v12
	ds_bpermute_b32 v6, v29, v9
	;; [unrolled: 1-line block ×3, first 2 shown]
	s_mov_b32 s19, exec_lo
	s_waitcnt lgkmcnt(2)
	v_cmpx_ne_u64_e32 0, v[19:20]
	s_cbranch_execz .LBB12_26
; %bb.25:                               ;   in Loop: Header=BB12_4 Depth=1
	s_waitcnt lgkmcnt(0)
	v_cmp_eq_f64_e32 vcc_lo, v[13:14], v[6:7]
	v_cmp_gt_f64_e64 s5, v[13:14], v[6:7]
	v_cmp_lt_i64_e64 s6, v[19:20], v[11:12]
	v_cmp_eq_u64_e64 s7, 0, v[11:12]
	s_delay_alu instid0(VALU_DEP_2) | instskip(NEXT) | instid1(VALU_DEP_1)
	s_and_b32 vcc_lo, vcc_lo, s6
	s_or_b32 s5, s7, s5
	v_cndmask_b32_e32 v8, v12, v20, vcc_lo
	s_or_b32 vcc_lo, s5, vcc_lo
	v_cndmask_b32_e64 v14, v14, v7, s5
	v_cndmask_b32_e32 v11, v11, v19, vcc_lo
	v_cndmask_b32_e64 v13, v13, v6, s5
	v_cndmask_b32_e64 v12, v8, v20, s5
.LBB12_26:                              ;   in Loop: Header=BB12_4 Depth=1
	s_or_b32 exec_lo, exec_lo, s19
	s_and_saveexec_b32 s5, s4
	s_cbranch_execz .LBB12_28
; %bb.27:                               ;   in Loop: Header=BB12_4 Depth=1
	ds_store_b128 v30, v[11:14]
.LBB12_28:                              ;   in Loop: Header=BB12_4 Depth=1
	s_or_b32 exec_lo, exec_lo, s5
	s_waitcnt lgkmcnt(0)
	v_mov_b32_e32 v7, 0
	v_dual_mov_b32 v8, 0 :: v_dual_mov_b32 v9, 0
	v_mov_b32_e32 v10, 0
	s_barrier
	buffer_gl0_inv
	s_and_saveexec_b32 s5, s3
	s_cbranch_execz .LBB12_30
; %bb.29:                               ;   in Loop: Header=BB12_4 Depth=1
	ds_load_b128 v[7:10], v24
.LBB12_30:                              ;   in Loop: Header=BB12_4 Depth=1
	s_or_b32 exec_lo, exec_lo, s5
	s_and_saveexec_b32 s19, s3
	s_cbranch_execz .LBB12_50
; %bb.31:                               ;   in Loop: Header=BB12_4 Depth=1
	s_waitcnt lgkmcnt(0)
	ds_bpermute_b32 v13, v25, v7
	ds_bpermute_b32 v14, v25, v8
	;; [unrolled: 1-line block ×4, first 2 shown]
	v_dual_mov_b32 v12, v10 :: v_dual_mov_b32 v11, v9
	s_mov_b32 s6, exec_lo
	s_waitcnt lgkmcnt(2)
	v_cmpx_ne_u64_e32 0, v[13:14]
	s_cbranch_execz .LBB12_35
; %bb.32:                               ;   in Loop: Header=BB12_4 Depth=1
	s_waitcnt lgkmcnt(0)
	v_cmp_ngt_f64_e32 vcc_lo, v[9:10], v[19:20]
	v_cmp_ne_u64_e64 s5, 0, v[7:8]
	v_dual_mov_b32 v11, v19 :: v_dual_mov_b32 v12, v20
	s_delay_alu instid0(VALU_DEP_2) | instskip(NEXT) | instid1(SALU_CYCLE_1)
	s_and_b32 s5, s5, vcc_lo
	s_and_saveexec_b32 s7, s5
; %bb.33:                               ;   in Loop: Header=BB12_4 Depth=1
	v_cmp_eq_f64_e64 s5, v[9:10], v[19:20]
	v_cmp_lt_i64_e32 vcc_lo, v[13:14], v[7:8]
	v_dual_mov_b32 v12, v10 :: v_dual_mov_b32 v19, v9
	v_dual_mov_b32 v11, v9 :: v_dual_mov_b32 v20, v10
	v_cndmask_b32_e32 v6, v8, v14, vcc_lo
	s_and_b32 vcc_lo, s5, vcc_lo
	s_delay_alu instid0(VALU_DEP_1)
	v_cndmask_b32_e64 v14, v8, v6, s5
	v_cndmask_b32_e32 v13, v7, v13, vcc_lo
; %bb.34:                               ;   in Loop: Header=BB12_4 Depth=1
	s_or_b32 exec_lo, exec_lo, s7
	v_dual_mov_b32 v10, v20 :: v_dual_mov_b32 v9, v19
	s_delay_alu instid0(VALU_DEP_2)
	v_dual_mov_b32 v7, v13 :: v_dual_mov_b32 v8, v14
.LBB12_35:                              ;   in Loop: Header=BB12_4 Depth=1
	s_or_b32 exec_lo, exec_lo, s6
	ds_bpermute_b32 v13, v26, v7
	ds_bpermute_b32 v14, v26, v8
	s_waitcnt lgkmcnt(3)
	ds_bpermute_b32 v19, v26, v9
	s_waitcnt lgkmcnt(3)
	ds_bpermute_b32 v20, v26, v10
	s_mov_b32 s6, exec_lo
	s_waitcnt lgkmcnt(2)
	v_cmpx_ne_u64_e32 0, v[13:14]
	s_cbranch_execz .LBB12_39
; %bb.36:                               ;   in Loop: Header=BB12_4 Depth=1
	s_waitcnt lgkmcnt(0)
	v_cmp_ngt_f64_e32 vcc_lo, v[11:12], v[19:20]
	v_cmp_ne_u64_e64 s5, 0, v[7:8]
	v_dual_mov_b32 v22, v20 :: v_dual_mov_b32 v21, v19
	s_delay_alu instid0(VALU_DEP_2) | instskip(NEXT) | instid1(SALU_CYCLE_1)
	s_and_b32 s5, s5, vcc_lo
	s_and_saveexec_b32 s7, s5
; %bb.37:                               ;   in Loop: Header=BB12_4 Depth=1
	v_cmp_eq_f64_e64 s5, v[11:12], v[19:20]
	v_cmp_lt_i64_e32 vcc_lo, v[13:14], v[7:8]
	v_dual_mov_b32 v22, v12 :: v_dual_mov_b32 v19, v9
	v_dual_mov_b32 v21, v11 :: v_dual_mov_b32 v20, v10
	v_cndmask_b32_e32 v6, v8, v14, vcc_lo
	s_and_b32 vcc_lo, s5, vcc_lo
	s_delay_alu instid0(VALU_DEP_1)
	v_cndmask_b32_e64 v14, v8, v6, s5
	v_cndmask_b32_e32 v13, v7, v13, vcc_lo
; %bb.38:                               ;   in Loop: Header=BB12_4 Depth=1
	s_or_b32 exec_lo, exec_lo, s7
	v_dual_mov_b32 v10, v20 :: v_dual_mov_b32 v9, v19
	s_delay_alu instid0(VALU_DEP_2)
	v_dual_mov_b32 v7, v13 :: v_dual_mov_b32 v8, v14
	v_dual_mov_b32 v11, v21 :: v_dual_mov_b32 v12, v22
.LBB12_39:                              ;   in Loop: Header=BB12_4 Depth=1
	s_or_b32 exec_lo, exec_lo, s6
	ds_bpermute_b32 v13, v27, v7
	ds_bpermute_b32 v14, v27, v8
	s_waitcnt lgkmcnt(3)
	ds_bpermute_b32 v19, v27, v9
	s_waitcnt lgkmcnt(3)
	ds_bpermute_b32 v20, v27, v10
	s_mov_b32 s6, exec_lo
	s_waitcnt lgkmcnt(2)
	v_cmpx_ne_u64_e32 0, v[13:14]
	s_cbranch_execz .LBB12_43
; %bb.40:                               ;   in Loop: Header=BB12_4 Depth=1
	s_waitcnt lgkmcnt(0)
	v_cmp_ngt_f64_e32 vcc_lo, v[11:12], v[19:20]
	v_cmp_ne_u64_e64 s5, 0, v[7:8]
	v_dual_mov_b32 v22, v20 :: v_dual_mov_b32 v21, v19
	s_delay_alu instid0(VALU_DEP_2) | instskip(NEXT) | instid1(SALU_CYCLE_1)
	s_and_b32 s5, s5, vcc_lo
	s_and_saveexec_b32 s7, s5
; %bb.41:                               ;   in Loop: Header=BB12_4 Depth=1
	v_cmp_eq_f64_e64 s5, v[11:12], v[19:20]
	v_cmp_lt_i64_e32 vcc_lo, v[13:14], v[7:8]
	v_dual_mov_b32 v22, v12 :: v_dual_mov_b32 v19, v9
	v_dual_mov_b32 v21, v11 :: v_dual_mov_b32 v20, v10
	v_cndmask_b32_e32 v6, v8, v14, vcc_lo
	s_and_b32 vcc_lo, s5, vcc_lo
	s_delay_alu instid0(VALU_DEP_1)
	v_cndmask_b32_e64 v14, v8, v6, s5
	v_cndmask_b32_e32 v13, v7, v13, vcc_lo
; %bb.42:                               ;   in Loop: Header=BB12_4 Depth=1
	s_or_b32 exec_lo, exec_lo, s7
	v_dual_mov_b32 v10, v20 :: v_dual_mov_b32 v9, v19
	s_delay_alu instid0(VALU_DEP_2)
	v_dual_mov_b32 v7, v13 :: v_dual_mov_b32 v8, v14
	v_dual_mov_b32 v11, v21 :: v_dual_mov_b32 v12, v22
.LBB12_43:                              ;   in Loop: Header=BB12_4 Depth=1
	;; [unrolled: 36-line block ×3, first 2 shown]
	s_or_b32 exec_lo, exec_lo, s6
	ds_bpermute_b32 v13, v29, v7
	ds_bpermute_b32 v14, v29, v8
	;; [unrolled: 1-line block ×4, first 2 shown]
	s_mov_b32 s20, exec_lo
	s_waitcnt lgkmcnt(2)
	v_cmpx_ne_u64_e32 0, v[13:14]
	s_cbranch_execz .LBB12_49
; %bb.48:                               ;   in Loop: Header=BB12_4 Depth=1
	s_waitcnt lgkmcnt(0)
	v_cmp_eq_f64_e32 vcc_lo, v[11:12], v[9:10]
	v_cmp_gt_f64_e64 s5, v[11:12], v[9:10]
	v_cmp_lt_i64_e64 s6, v[13:14], v[7:8]
	v_cmp_eq_u64_e64 s7, 0, v[7:8]
	s_delay_alu instid0(VALU_DEP_2) | instskip(NEXT) | instid1(VALU_DEP_1)
	s_and_b32 vcc_lo, vcc_lo, s6
	s_or_b32 s5, s7, s5
	v_cndmask_b32_e32 v6, v8, v14, vcc_lo
	s_or_b32 vcc_lo, s5, vcc_lo
	v_cndmask_b32_e64 v12, v12, v10, s5
	v_cndmask_b32_e32 v7, v7, v13, vcc_lo
	v_cndmask_b32_e64 v11, v11, v9, s5
	v_cndmask_b32_e64 v8, v6, v14, s5
.LBB12_49:                              ;   in Loop: Header=BB12_4 Depth=1
	s_or_b32 exec_lo, exec_lo, s20
	s_waitcnt lgkmcnt(0)
	s_delay_alu instid0(VALU_DEP_2)
	v_dual_mov_b32 v9, v11 :: v_dual_mov_b32 v10, v12
.LBB12_50:                              ;   in Loop: Header=BB12_4 Depth=1
	s_or_b32 exec_lo, exec_lo, s19
	s_waitcnt lgkmcnt(0)
	v_cmp_ne_u64_e32 vcc_lo, 0, v[7:8]
	s_and_b32 s5, s18, vcc_lo
	s_delay_alu instid0(SALU_CYCLE_1)
	s_and_saveexec_b32 s6, s5
	s_cbranch_execz .LBB12_3
; %bb.51:                               ;   in Loop: Header=BB12_4 Depth=1
	v_cmp_nlt_f64_e32 vcc_lo, v[9:10], v[3:4]
	v_cmp_ne_u64_e64 s5, 0, v[1:2]
	v_dual_mov_b32 v12, v10 :: v_dual_mov_b32 v11, v9
	s_delay_alu instid0(VALU_DEP_2) | instskip(NEXT) | instid1(SALU_CYCLE_1)
	s_and_b32 s5, s5, vcc_lo
	s_and_saveexec_b32 s7, s5
	s_cbranch_execz .LBB12_2
; %bb.52:                               ;   in Loop: Header=BB12_4 Depth=1
	v_cmp_eq_f64_e64 s5, v[3:4], v[9:10]
	v_cmp_lt_i64_e32 vcc_lo, v[7:8], v[1:2]
	v_dual_mov_b32 v12, v4 :: v_dual_mov_b32 v11, v3
	v_cndmask_b32_e32 v6, v2, v8, vcc_lo
	s_delay_alu instid0(VALU_DEP_4) | instskip(SKIP_1) | instid1(VALU_DEP_2)
	s_and_b32 vcc_lo, s5, vcc_lo
	v_cndmask_b32_e32 v7, v1, v7, vcc_lo
	v_cndmask_b32_e64 v8, v2, v6, s5
	s_branch .LBB12_2
.LBB12_53:
	v_mov_b32_e32 v1, 0
	v_mov_b32_e32 v2, 0
.LBB12_54:
	s_mov_b32 s15, 0
	s_mov_b32 s3, exec_lo
	v_cmpx_eq_u32_e32 0, v0
	s_cbranch_execz .LBB12_56
; %bb.55:
	s_load_b32 s0, s[0:1], 0x30
	v_mov_b32_e32 v0, 0
	s_waitcnt lgkmcnt(0)
	s_mul_hi_u32 s1, s0, s2
	s_mul_i32 s0, s0, s2
	s_delay_alu instid0(SALU_CYCLE_1) | instskip(NEXT) | instid1(SALU_CYCLE_1)
	s_lshl_b64 s[0:1], s[0:1], 4
	s_add_u32 s2, s10, s0
	s_addc_u32 s3, s11, s1
	s_lshl_b64 s[0:1], s[14:15], 4
	s_delay_alu instid0(SALU_CYCLE_1)
	s_add_u32 s0, s2, s0
	s_addc_u32 s1, s3, s1
	global_store_b128 v0, v[1:4], s[0:1]
.LBB12_56:
	s_nop 0
	s_sendmsg sendmsg(MSG_DEALLOC_VGPRS)
	s_endpgm
	.section	.rodata,"a",@progbits
	.p2align	6, 0x0
	.amdhsa_kernel _ZL35rocblas_iamax_iamin_kernel_part1_64ILi1024E26rocblas_fetch_amax_amin_64IdE22rocblas_reduce_amin_64PKd24rocblas_index_64_value_tIdEEvlT2_lllPT3_
		.amdhsa_group_segment_fixed_size 512
		.amdhsa_private_segment_fixed_size 0
		.amdhsa_kernarg_size 304
		.amdhsa_user_sgpr_count 14
		.amdhsa_user_sgpr_dispatch_ptr 0
		.amdhsa_user_sgpr_queue_ptr 0
		.amdhsa_user_sgpr_kernarg_segment_ptr 1
		.amdhsa_user_sgpr_dispatch_id 0
		.amdhsa_user_sgpr_private_segment_size 0
		.amdhsa_wavefront_size32 1
		.amdhsa_uses_dynamic_stack 0
		.amdhsa_enable_private_segment 0
		.amdhsa_system_sgpr_workgroup_id_x 1
		.amdhsa_system_sgpr_workgroup_id_y 0
		.amdhsa_system_sgpr_workgroup_id_z 1
		.amdhsa_system_sgpr_workgroup_info 0
		.amdhsa_system_vgpr_workitem_id 0
		.amdhsa_next_free_vgpr 31
		.amdhsa_next_free_sgpr 24
		.amdhsa_reserve_vcc 1
		.amdhsa_float_round_mode_32 0
		.amdhsa_float_round_mode_16_64 0
		.amdhsa_float_denorm_mode_32 3
		.amdhsa_float_denorm_mode_16_64 3
		.amdhsa_dx10_clamp 1
		.amdhsa_ieee_mode 1
		.amdhsa_fp16_overflow 0
		.amdhsa_workgroup_processor_mode 1
		.amdhsa_memory_ordered 1
		.amdhsa_forward_progress 0
		.amdhsa_shared_vgpr_count 0
		.amdhsa_exception_fp_ieee_invalid_op 0
		.amdhsa_exception_fp_denorm_src 0
		.amdhsa_exception_fp_ieee_div_zero 0
		.amdhsa_exception_fp_ieee_overflow 0
		.amdhsa_exception_fp_ieee_underflow 0
		.amdhsa_exception_fp_ieee_inexact 0
		.amdhsa_exception_int_div_zero 0
	.end_amdhsa_kernel
	.section	.text._ZL35rocblas_iamax_iamin_kernel_part1_64ILi1024E26rocblas_fetch_amax_amin_64IdE22rocblas_reduce_amin_64PKd24rocblas_index_64_value_tIdEEvlT2_lllPT3_,"axG",@progbits,_ZL35rocblas_iamax_iamin_kernel_part1_64ILi1024E26rocblas_fetch_amax_amin_64IdE22rocblas_reduce_amin_64PKd24rocblas_index_64_value_tIdEEvlT2_lllPT3_,comdat
.Lfunc_end12:
	.size	_ZL35rocblas_iamax_iamin_kernel_part1_64ILi1024E26rocblas_fetch_amax_amin_64IdE22rocblas_reduce_amin_64PKd24rocblas_index_64_value_tIdEEvlT2_lllPT3_, .Lfunc_end12-_ZL35rocblas_iamax_iamin_kernel_part1_64ILi1024E26rocblas_fetch_amax_amin_64IdE22rocblas_reduce_amin_64PKd24rocblas_index_64_value_tIdEEvlT2_lllPT3_
                                        ; -- End function
	.section	.AMDGPU.csdata,"",@progbits
; Kernel info:
; codeLenInByte = 2596
; NumSgprs: 26
; NumVgprs: 31
; ScratchSize: 0
; MemoryBound: 0
; FloatMode: 240
; IeeeMode: 1
; LDSByteSize: 512 bytes/workgroup (compile time only)
; SGPRBlocks: 3
; VGPRBlocks: 3
; NumSGPRsForWavesPerEU: 26
; NumVGPRsForWavesPerEU: 31
; Occupancy: 16
; WaveLimiterHint : 0
; COMPUTE_PGM_RSRC2:SCRATCH_EN: 0
; COMPUTE_PGM_RSRC2:USER_SGPR: 14
; COMPUTE_PGM_RSRC2:TRAP_HANDLER: 0
; COMPUTE_PGM_RSRC2:TGID_X_EN: 1
; COMPUTE_PGM_RSRC2:TGID_Y_EN: 0
; COMPUTE_PGM_RSRC2:TGID_Z_EN: 1
; COMPUTE_PGM_RSRC2:TIDIG_COMP_CNT: 0
	.section	.text._ZL35rocblas_iamax_iamin_kernel_part2_64ILi1024E22rocblas_reduce_amin_6424rocblas_index_64_value_tIdElEviPT1_PT2_,"axG",@progbits,_ZL35rocblas_iamax_iamin_kernel_part2_64ILi1024E22rocblas_reduce_amin_6424rocblas_index_64_value_tIdElEviPT1_PT2_,comdat
	.globl	_ZL35rocblas_iamax_iamin_kernel_part2_64ILi1024E22rocblas_reduce_amin_6424rocblas_index_64_value_tIdElEviPT1_PT2_ ; -- Begin function _ZL35rocblas_iamax_iamin_kernel_part2_64ILi1024E22rocblas_reduce_amin_6424rocblas_index_64_value_tIdElEviPT1_PT2_
	.p2align	8
	.type	_ZL35rocblas_iamax_iamin_kernel_part2_64ILi1024E22rocblas_reduce_amin_6424rocblas_index_64_value_tIdElEviPT1_PT2_,@function
_ZL35rocblas_iamax_iamin_kernel_part2_64ILi1024E22rocblas_reduce_amin_6424rocblas_index_64_value_tIdElEviPT1_PT2_: ; @_ZL35rocblas_iamax_iamin_kernel_part2_64ILi1024E22rocblas_reduce_amin_6424rocblas_index_64_value_tIdElEviPT1_PT2_
; %bb.0:
	s_clause 0x1
	s_load_b32 s3, s[0:1], 0x0
	s_load_b128 s[4:7], s[0:1], 0x8
	v_mov_b32_e32 v1, 0
	v_mov_b32_e32 v2, 0
	s_mov_b32 s8, s15
	s_mov_b32 s2, exec_lo
	s_waitcnt lgkmcnt(0)
	v_cmpx_gt_i32_e64 s3, v0
	s_cbranch_execz .LBB13_10
; %bb.1:
	s_mul_hi_u32 s1, s3, s8
	s_mul_i32 s0, s3, s8
	v_lshlrev_b32_e32 v5, 4, v0
	s_lshl_b64 s[0:1], s[0:1], 4
	v_or_b32_e32 v11, 0x400, v0
	s_add_u32 s10, s4, s0
	s_addc_u32 s11, s5, s1
	s_mov_b32 s9, exec_lo
	global_load_b128 v[1:4], v5, s[10:11]
	v_cmpx_gt_u32_e64 s3, v11
	s_cbranch_execz .LBB13_9
; %bb.2:
	s_add_u32 s0, s4, s0
	s_addc_u32 s1, s5, s1
	v_add_co_u32 v5, s0, s0, v5
	s_delay_alu instid0(VALU_DEP_1) | instskip(SKIP_1) | instid1(VALU_DEP_2)
	v_add_co_ci_u32_e64 v6, null, s1, 0, s0
	s_mov_b32 s1, 0
	v_add_co_u32 v5, vcc_lo, 0x4008, v5
	s_delay_alu instid0(VALU_DEP_2)
	v_add_co_ci_u32_e32 v6, vcc_lo, 0, v6, vcc_lo
	s_set_inst_prefetch_distance 0x1
	s_branch .LBB13_5
	.p2align	6
.LBB13_3:                               ;   in Loop: Header=BB13_5 Depth=1
	s_or_b32 exec_lo, exec_lo, s5
	s_delay_alu instid0(VALU_DEP_1)
	v_dual_mov_b32 v1, v7 :: v_dual_mov_b32 v2, v8
	v_dual_mov_b32 v3, v9 :: v_dual_mov_b32 v4, v10
.LBB13_4:                               ;   in Loop: Header=BB13_5 Depth=1
	s_or_b32 exec_lo, exec_lo, s4
	v_add_nc_u32_e32 v11, 0x400, v11
	v_add_co_u32 v5, s0, 0x4000, v5
	s_delay_alu instid0(VALU_DEP_1) | instskip(NEXT) | instid1(VALU_DEP_3)
	v_add_co_ci_u32_e64 v6, s0, 0, v6, s0
	v_cmp_le_i32_e32 vcc_lo, s3, v11
	s_or_b32 s1, vcc_lo, s1
	s_delay_alu instid0(SALU_CYCLE_1)
	s_and_not1_b32 exec_lo, exec_lo, s1
	s_cbranch_execz .LBB13_8
.LBB13_5:                               ; =>This Inner Loop Header: Depth=1
	global_load_b64 v[7:8], v[5:6], off offset:-8
	s_mov_b32 s4, exec_lo
	s_waitcnt vmcnt(0)
	v_cmpx_ne_u64_e32 0, v[7:8]
	s_cbranch_execz .LBB13_4
; %bb.6:                                ;   in Loop: Header=BB13_5 Depth=1
	global_load_b64 v[9:10], v[5:6], off
	v_cmp_ne_u64_e64 s0, 0, v[1:2]
	s_waitcnt vmcnt(0)
	v_cmp_nlt_f64_e32 vcc_lo, v[9:10], v[3:4]
	s_delay_alu instid0(VALU_DEP_2) | instskip(NEXT) | instid1(SALU_CYCLE_1)
	s_and_b32 s0, s0, vcc_lo
	s_and_saveexec_b32 s5, s0
	s_cbranch_execz .LBB13_3
; %bb.7:                                ;   in Loop: Header=BB13_5 Depth=1
	v_cmp_eq_f64_e64 s0, v[3:4], v[9:10]
	v_cmp_lt_i64_e32 vcc_lo, v[7:8], v[1:2]
	v_dual_mov_b32 v10, v4 :: v_dual_mov_b32 v9, v3
	v_cndmask_b32_e32 v8, v2, v8, vcc_lo
	s_delay_alu instid0(VALU_DEP_4) | instskip(SKIP_1) | instid1(VALU_DEP_2)
	s_and_b32 vcc_lo, s0, vcc_lo
	v_cndmask_b32_e32 v7, v1, v7, vcc_lo
	v_cndmask_b32_e64 v8, v2, v8, s0
	s_branch .LBB13_3
.LBB13_8:
	s_set_inst_prefetch_distance 0x2
	s_or_b32 exec_lo, exec_lo, s1
.LBB13_9:
	s_delay_alu instid0(SALU_CYCLE_1)
	s_or_b32 exec_lo, exec_lo, s9
.LBB13_10:
	s_delay_alu instid0(SALU_CYCLE_1) | instskip(SKIP_2) | instid1(VALU_DEP_2)
	s_or_b32 exec_lo, exec_lo, s2
	v_and_b32_e32 v19, 31, v0
	v_cmp_gt_u32_e32 vcc_lo, 32, v0
	v_lshlrev_b32_e32 v15, 4, v19
	s_and_saveexec_b32 s0, vcc_lo
	s_cbranch_execz .LBB13_12
; %bb.11:
	v_mov_b32_e32 v5, 0
	s_delay_alu instid0(VALU_DEP_1)
	v_mov_b32_e32 v6, v5
	v_mov_b32_e32 v7, v5
	;; [unrolled: 1-line block ×3, first 2 shown]
	ds_store_b128 v15, v[5:8]
.LBB13_12:
	s_or_b32 exec_lo, exec_lo, s0
	v_mbcnt_lo_u32_b32 v18, -1, 0
	s_mov_b32 s2, exec_lo
	s_waitcnt vmcnt(0) lgkmcnt(0)
	s_barrier
	buffer_gl0_inv
	v_cmp_gt_u32_e64 s0, 16, v18
	s_delay_alu instid0(VALU_DEP_1) | instskip(NEXT) | instid1(VALU_DEP_1)
	v_cndmask_b32_e64 v5, 0, 1, s0
	v_lshlrev_b32_e32 v5, 4, v5
	s_delay_alu instid0(VALU_DEP_1)
	v_add_lshl_u32 v13, v5, v18, 2
	v_dual_mov_b32 v6, v4 :: v_dual_mov_b32 v5, v3
	ds_bpermute_b32 v7, v13, v1
	ds_bpermute_b32 v8, v13, v2
	;; [unrolled: 1-line block ×4, first 2 shown]
	s_waitcnt lgkmcnt(2)
	v_cmpx_ne_u64_e32 0, v[7:8]
	s_cbranch_execz .LBB13_16
; %bb.13:
	s_waitcnt lgkmcnt(0)
	v_cmp_ngt_f64_e64 s0, v[3:4], v[9:10]
	v_cmp_ne_u64_e64 s1, 0, v[1:2]
	v_dual_mov_b32 v5, v9 :: v_dual_mov_b32 v6, v10
	s_delay_alu instid0(VALU_DEP_2) | instskip(NEXT) | instid1(SALU_CYCLE_1)
	s_and_b32 s0, s1, s0
	s_and_saveexec_b32 s3, s0
; %bb.14:
	v_cmp_eq_f64_e64 s1, v[3:4], v[9:10]
	v_cmp_lt_i64_e64 s0, v[7:8], v[1:2]
	v_dual_mov_b32 v6, v4 :: v_dual_mov_b32 v5, v3
	v_dual_mov_b32 v9, v3 :: v_dual_mov_b32 v10, v4
	s_delay_alu instid0(VALU_DEP_3) | instskip(SKIP_1) | instid1(VALU_DEP_1)
	v_cndmask_b32_e64 v8, v2, v8, s0
	s_and_b32 s0, s1, s0
	v_cndmask_b32_e64 v8, v2, v8, s1
	v_cndmask_b32_e64 v7, v1, v7, s0
; %bb.15:
	s_or_b32 exec_lo, exec_lo, s3
	v_dual_mov_b32 v4, v10 :: v_dual_mov_b32 v3, v9
	s_delay_alu instid0(VALU_DEP_2)
	v_dual_mov_b32 v1, v7 :: v_dual_mov_b32 v2, v8
.LBB13_16:
	s_or_b32 exec_lo, exec_lo, s2
	v_cmp_gt_u32_e64 s0, 24, v18
	s_mov_b32 s2, exec_lo
	s_delay_alu instid0(VALU_DEP_1) | instskip(NEXT) | instid1(VALU_DEP_1)
	v_cndmask_b32_e64 v7, 0, 1, s0
	v_lshlrev_b32_e32 v7, 3, v7
	s_delay_alu instid0(VALU_DEP_1)
	v_add_lshl_u32 v14, v7, v18, 2
	ds_bpermute_b32 v7, v14, v1
	ds_bpermute_b32 v8, v14, v2
	s_waitcnt lgkmcnt(3)
	ds_bpermute_b32 v9, v14, v3
	s_waitcnt lgkmcnt(3)
	ds_bpermute_b32 v10, v14, v4
	s_waitcnt lgkmcnt(2)
	v_cmpx_ne_u64_e32 0, v[7:8]
	s_cbranch_execz .LBB13_20
; %bb.17:
	s_waitcnt lgkmcnt(0)
	v_cmp_ngt_f64_e64 s0, v[5:6], v[9:10]
	v_cmp_ne_u64_e64 s1, 0, v[1:2]
	v_dual_mov_b32 v12, v10 :: v_dual_mov_b32 v11, v9
	s_delay_alu instid0(VALU_DEP_2) | instskip(NEXT) | instid1(SALU_CYCLE_1)
	s_and_b32 s0, s1, s0
	s_and_saveexec_b32 s3, s0
; %bb.18:
	v_cmp_eq_f64_e64 s1, v[5:6], v[9:10]
	v_cmp_lt_i64_e64 s0, v[7:8], v[1:2]
	v_dual_mov_b32 v12, v6 :: v_dual_mov_b32 v11, v5
	v_dual_mov_b32 v9, v3 :: v_dual_mov_b32 v10, v4
	s_delay_alu instid0(VALU_DEP_3) | instskip(SKIP_1) | instid1(VALU_DEP_1)
	v_cndmask_b32_e64 v8, v2, v8, s0
	s_and_b32 s0, s1, s0
	v_cndmask_b32_e64 v8, v2, v8, s1
	v_cndmask_b32_e64 v7, v1, v7, s0
; %bb.19:
	s_or_b32 exec_lo, exec_lo, s3
	v_dual_mov_b32 v4, v10 :: v_dual_mov_b32 v3, v9
	s_delay_alu instid0(VALU_DEP_2)
	v_dual_mov_b32 v1, v7 :: v_dual_mov_b32 v2, v8
	v_dual_mov_b32 v5, v11 :: v_dual_mov_b32 v6, v12
.LBB13_20:
	s_or_b32 exec_lo, exec_lo, s2
	v_cmp_gt_u32_e64 s0, 28, v18
	s_mov_b32 s2, exec_lo
	s_delay_alu instid0(VALU_DEP_1) | instskip(NEXT) | instid1(VALU_DEP_1)
	v_cndmask_b32_e64 v7, 0, 1, s0
	v_lshlrev_b32_e32 v7, 2, v7
	s_delay_alu instid0(VALU_DEP_1)
	v_add_lshl_u32 v16, v7, v18, 2
	ds_bpermute_b32 v7, v16, v1
	ds_bpermute_b32 v8, v16, v2
	s_waitcnt lgkmcnt(3)
	ds_bpermute_b32 v9, v16, v3
	s_waitcnt lgkmcnt(3)
	ds_bpermute_b32 v10, v16, v4
	s_waitcnt lgkmcnt(2)
	v_cmpx_ne_u64_e32 0, v[7:8]
	s_cbranch_execz .LBB13_24
; %bb.21:
	s_waitcnt lgkmcnt(0)
	v_cmp_ngt_f64_e64 s0, v[5:6], v[9:10]
	v_cmp_ne_u64_e64 s1, 0, v[1:2]
	v_dual_mov_b32 v12, v10 :: v_dual_mov_b32 v11, v9
	s_delay_alu instid0(VALU_DEP_2) | instskip(NEXT) | instid1(SALU_CYCLE_1)
	s_and_b32 s0, s1, s0
	s_and_saveexec_b32 s3, s0
; %bb.22:
	v_cmp_eq_f64_e64 s1, v[5:6], v[9:10]
	v_cmp_lt_i64_e64 s0, v[7:8], v[1:2]
	v_dual_mov_b32 v12, v6 :: v_dual_mov_b32 v11, v5
	v_dual_mov_b32 v9, v3 :: v_dual_mov_b32 v10, v4
	s_delay_alu instid0(VALU_DEP_3) | instskip(SKIP_1) | instid1(VALU_DEP_1)
	v_cndmask_b32_e64 v8, v2, v8, s0
	s_and_b32 s0, s1, s0
	v_cndmask_b32_e64 v8, v2, v8, s1
	v_cndmask_b32_e64 v7, v1, v7, s0
; %bb.23:
	s_or_b32 exec_lo, exec_lo, s3
	v_dual_mov_b32 v4, v10 :: v_dual_mov_b32 v3, v9
	s_delay_alu instid0(VALU_DEP_2)
	v_dual_mov_b32 v1, v7 :: v_dual_mov_b32 v2, v8
	v_dual_mov_b32 v5, v11 :: v_dual_mov_b32 v6, v12
.LBB13_24:
	;; [unrolled: 42-line block ×3, first 2 shown]
	s_or_b32 exec_lo, exec_lo, s2
	v_cmp_ne_u32_e64 s0, 31, v18
	s_mov_b32 s4, exec_lo
	s_delay_alu instid0(VALU_DEP_1) | instskip(NEXT) | instid1(VALU_DEP_1)
	v_add_co_ci_u32_e64 v7, s0, 0, v18, s0
	v_lshlrev_b32_e32 v18, 2, v7
	ds_bpermute_b32 v7, v18, v1
	ds_bpermute_b32 v8, v18, v2
	;; [unrolled: 1-line block ×4, first 2 shown]
	s_waitcnt lgkmcnt(2)
	v_cmpx_ne_u64_e32 0, v[7:8]
	s_cbranch_execz .LBB13_30
; %bb.29:
	s_waitcnt lgkmcnt(0)
	v_cmp_eq_f64_e64 s0, v[5:6], v[3:4]
	v_cmp_gt_f64_e64 s1, v[5:6], v[3:4]
	v_cmp_lt_i64_e64 s2, v[7:8], v[1:2]
	v_cmp_eq_u64_e64 s3, 0, v[1:2]
	s_delay_alu instid0(VALU_DEP_2) | instskip(NEXT) | instid1(VALU_DEP_1)
	s_and_b32 s0, s0, s2
	s_or_b32 s1, s3, s1
	v_cndmask_b32_e64 v2, v2, v8, s0
	s_or_b32 s0, s1, s0
	v_cndmask_b32_e64 v6, v6, v4, s1
	v_cndmask_b32_e64 v1, v1, v7, s0
	;; [unrolled: 1-line block ×4, first 2 shown]
.LBB13_30:
	s_or_b32 exec_lo, exec_lo, s4
	s_delay_alu instid0(SALU_CYCLE_1)
	s_mov_b32 s1, exec_lo
	v_cmpx_eq_u32_e32 0, v19
	s_cbranch_execz .LBB13_32
; %bb.31:
	s_waitcnt lgkmcnt(0)
	v_lshrrev_b32_e32 v4, 1, v0
	v_mov_b32_e32 v3, v5
	s_delay_alu instid0(VALU_DEP_2)
	v_dual_mov_b32 v4, v6 :: v_dual_and_b32 v5, 0x1f0, v4
	ds_store_b128 v5, v[1:4]
.LBB13_32:
	s_or_b32 exec_lo, exec_lo, s1
	v_mov_b32_e32 v1, 0
	s_waitcnt lgkmcnt(0)
	v_dual_mov_b32 v2, 0 :: v_dual_mov_b32 v3, 0
	v_mov_b32_e32 v4, 0
	s_barrier
	buffer_gl0_inv
	s_and_saveexec_b32 s0, vcc_lo
	s_cbranch_execz .LBB13_34
; %bb.33:
	ds_load_b128 v[1:4], v15
.LBB13_34:
	s_or_b32 exec_lo, exec_lo, s0
	s_and_saveexec_b32 s3, vcc_lo
	s_cbranch_execz .LBB13_54
; %bb.35:
	s_waitcnt lgkmcnt(0)
	ds_bpermute_b32 v7, v13, v1
	ds_bpermute_b32 v8, v13, v2
	;; [unrolled: 1-line block ×4, first 2 shown]
	v_dual_mov_b32 v6, v4 :: v_dual_mov_b32 v5, v3
	s_mov_b32 s1, exec_lo
	s_waitcnt lgkmcnt(2)
	v_cmpx_ne_u64_e32 0, v[7:8]
	s_cbranch_execz .LBB13_39
; %bb.36:
	s_waitcnt lgkmcnt(0)
	v_cmp_ngt_f64_e32 vcc_lo, v[3:4], v[9:10]
	v_cmp_ne_u64_e64 s0, 0, v[1:2]
	v_dual_mov_b32 v5, v9 :: v_dual_mov_b32 v6, v10
	s_delay_alu instid0(VALU_DEP_2) | instskip(NEXT) | instid1(SALU_CYCLE_1)
	s_and_b32 s0, s0, vcc_lo
	s_and_saveexec_b32 s2, s0
; %bb.37:
	v_cmp_eq_f64_e64 s0, v[3:4], v[9:10]
	v_cmp_lt_i64_e32 vcc_lo, v[7:8], v[1:2]
	v_dual_mov_b32 v6, v4 :: v_dual_mov_b32 v9, v3
	v_dual_mov_b32 v5, v3 :: v_dual_mov_b32 v10, v4
	v_cndmask_b32_e32 v8, v2, v8, vcc_lo
	s_and_b32 vcc_lo, s0, vcc_lo
	s_delay_alu instid0(VALU_DEP_1)
	v_cndmask_b32_e64 v8, v2, v8, s0
	v_cndmask_b32_e32 v7, v1, v7, vcc_lo
; %bb.38:
	s_or_b32 exec_lo, exec_lo, s2
	v_dual_mov_b32 v4, v10 :: v_dual_mov_b32 v3, v9
	s_delay_alu instid0(VALU_DEP_2)
	v_dual_mov_b32 v1, v7 :: v_dual_mov_b32 v2, v8
.LBB13_39:
	s_or_b32 exec_lo, exec_lo, s1
	ds_bpermute_b32 v7, v14, v1
	ds_bpermute_b32 v8, v14, v2
	s_waitcnt lgkmcnt(3)
	ds_bpermute_b32 v9, v14, v3
	s_waitcnt lgkmcnt(3)
	ds_bpermute_b32 v10, v14, v4
	s_mov_b32 s1, exec_lo
	s_waitcnt lgkmcnt(2)
	v_cmpx_ne_u64_e32 0, v[7:8]
	s_cbranch_execz .LBB13_43
; %bb.40:
	s_waitcnt lgkmcnt(0)
	v_cmp_ngt_f64_e32 vcc_lo, v[5:6], v[9:10]
	v_cmp_ne_u64_e64 s0, 0, v[1:2]
	v_dual_mov_b32 v12, v10 :: v_dual_mov_b32 v11, v9
	s_delay_alu instid0(VALU_DEP_2) | instskip(NEXT) | instid1(SALU_CYCLE_1)
	s_and_b32 s0, s0, vcc_lo
	s_and_saveexec_b32 s2, s0
; %bb.41:
	v_cmp_eq_f64_e64 s0, v[5:6], v[9:10]
	v_cmp_lt_i64_e32 vcc_lo, v[7:8], v[1:2]
	v_dual_mov_b32 v12, v6 :: v_dual_mov_b32 v9, v3
	v_dual_mov_b32 v11, v5 :: v_dual_mov_b32 v10, v4
	v_cndmask_b32_e32 v8, v2, v8, vcc_lo
	s_and_b32 vcc_lo, s0, vcc_lo
	s_delay_alu instid0(VALU_DEP_1)
	v_cndmask_b32_e64 v8, v2, v8, s0
	v_cndmask_b32_e32 v7, v1, v7, vcc_lo
; %bb.42:
	s_or_b32 exec_lo, exec_lo, s2
	v_dual_mov_b32 v4, v10 :: v_dual_mov_b32 v3, v9
	s_delay_alu instid0(VALU_DEP_2)
	v_dual_mov_b32 v1, v7 :: v_dual_mov_b32 v2, v8
	v_dual_mov_b32 v5, v11 :: v_dual_mov_b32 v6, v12
.LBB13_43:
	s_or_b32 exec_lo, exec_lo, s1
	ds_bpermute_b32 v7, v16, v1
	ds_bpermute_b32 v8, v16, v2
	s_waitcnt lgkmcnt(3)
	ds_bpermute_b32 v9, v16, v3
	s_waitcnt lgkmcnt(3)
	ds_bpermute_b32 v10, v16, v4
	s_mov_b32 s1, exec_lo
	s_waitcnt lgkmcnt(2)
	v_cmpx_ne_u64_e32 0, v[7:8]
	s_cbranch_execz .LBB13_47
; %bb.44:
	s_waitcnt lgkmcnt(0)
	v_cmp_ngt_f64_e32 vcc_lo, v[5:6], v[9:10]
	v_cmp_ne_u64_e64 s0, 0, v[1:2]
	v_dual_mov_b32 v12, v10 :: v_dual_mov_b32 v11, v9
	s_delay_alu instid0(VALU_DEP_2) | instskip(NEXT) | instid1(SALU_CYCLE_1)
	s_and_b32 s0, s0, vcc_lo
	s_and_saveexec_b32 s2, s0
; %bb.45:
	v_cmp_eq_f64_e64 s0, v[5:6], v[9:10]
	v_cmp_lt_i64_e32 vcc_lo, v[7:8], v[1:2]
	v_dual_mov_b32 v12, v6 :: v_dual_mov_b32 v9, v3
	v_dual_mov_b32 v11, v5 :: v_dual_mov_b32 v10, v4
	v_cndmask_b32_e32 v8, v2, v8, vcc_lo
	s_and_b32 vcc_lo, s0, vcc_lo
	s_delay_alu instid0(VALU_DEP_1)
	v_cndmask_b32_e64 v8, v2, v8, s0
	v_cndmask_b32_e32 v7, v1, v7, vcc_lo
; %bb.46:
	s_or_b32 exec_lo, exec_lo, s2
	v_dual_mov_b32 v4, v10 :: v_dual_mov_b32 v3, v9
	s_delay_alu instid0(VALU_DEP_2)
	v_dual_mov_b32 v1, v7 :: v_dual_mov_b32 v2, v8
	v_dual_mov_b32 v5, v11 :: v_dual_mov_b32 v6, v12
.LBB13_47:
	;; [unrolled: 36-line block ×3, first 2 shown]
	s_or_b32 exec_lo, exec_lo, s1
	ds_bpermute_b32 v7, v18, v1
	ds_bpermute_b32 v8, v18, v2
	;; [unrolled: 1-line block ×4, first 2 shown]
	s_mov_b32 s4, exec_lo
	s_waitcnt lgkmcnt(2)
	v_cmpx_ne_u64_e32 0, v[7:8]
	s_cbranch_execz .LBB13_53
; %bb.52:
	s_waitcnt lgkmcnt(0)
	v_cmp_eq_f64_e32 vcc_lo, v[5:6], v[3:4]
	v_cmp_gt_f64_e64 s0, v[5:6], v[3:4]
	v_cmp_lt_i64_e64 s1, v[7:8], v[1:2]
	v_cmp_eq_u64_e64 s2, 0, v[1:2]
	s_delay_alu instid0(VALU_DEP_2) | instskip(NEXT) | instid1(VALU_DEP_1)
	s_and_b32 vcc_lo, vcc_lo, s1
	s_or_b32 s0, s2, s0
	v_cndmask_b32_e32 v2, v2, v8, vcc_lo
	s_or_b32 vcc_lo, s0, vcc_lo
	v_cndmask_b32_e32 v1, v1, v7, vcc_lo
	s_delay_alu instid0(VALU_DEP_2)
	v_cndmask_b32_e64 v2, v2, v8, s0
.LBB13_53:
	s_or_b32 exec_lo, exec_lo, s4
.LBB13_54:
	s_delay_alu instid0(SALU_CYCLE_1)
	s_or_b32 exec_lo, exec_lo, s3
	s_mov_b32 s9, 0
	s_mov_b32 s0, exec_lo
	v_cmpx_eq_u32_e32 0, v0
	s_cbranch_execz .LBB13_56
; %bb.55:
	s_lshl_b64 s[0:1], s[8:9], 3
	v_mov_b32_e32 v0, 0
	s_add_u32 s0, s6, s0
	s_addc_u32 s1, s7, s1
	s_waitcnt lgkmcnt(0)
	global_store_b64 v0, v[1:2], s[0:1]
.LBB13_56:
	s_nop 0
	s_sendmsg sendmsg(MSG_DEALLOC_VGPRS)
	s_endpgm
	.section	.rodata,"a",@progbits
	.p2align	6, 0x0
	.amdhsa_kernel _ZL35rocblas_iamax_iamin_kernel_part2_64ILi1024E22rocblas_reduce_amin_6424rocblas_index_64_value_tIdElEviPT1_PT2_
		.amdhsa_group_segment_fixed_size 512
		.amdhsa_private_segment_fixed_size 0
		.amdhsa_kernarg_size 24
		.amdhsa_user_sgpr_count 15
		.amdhsa_user_sgpr_dispatch_ptr 0
		.amdhsa_user_sgpr_queue_ptr 0
		.amdhsa_user_sgpr_kernarg_segment_ptr 1
		.amdhsa_user_sgpr_dispatch_id 0
		.amdhsa_user_sgpr_private_segment_size 0
		.amdhsa_wavefront_size32 1
		.amdhsa_uses_dynamic_stack 0
		.amdhsa_enable_private_segment 0
		.amdhsa_system_sgpr_workgroup_id_x 1
		.amdhsa_system_sgpr_workgroup_id_y 0
		.amdhsa_system_sgpr_workgroup_id_z 0
		.amdhsa_system_sgpr_workgroup_info 0
		.amdhsa_system_vgpr_workitem_id 0
		.amdhsa_next_free_vgpr 20
		.amdhsa_next_free_sgpr 16
		.amdhsa_reserve_vcc 1
		.amdhsa_float_round_mode_32 0
		.amdhsa_float_round_mode_16_64 0
		.amdhsa_float_denorm_mode_32 3
		.amdhsa_float_denorm_mode_16_64 3
		.amdhsa_dx10_clamp 1
		.amdhsa_ieee_mode 1
		.amdhsa_fp16_overflow 0
		.amdhsa_workgroup_processor_mode 1
		.amdhsa_memory_ordered 1
		.amdhsa_forward_progress 0
		.amdhsa_shared_vgpr_count 0
		.amdhsa_exception_fp_ieee_invalid_op 0
		.amdhsa_exception_fp_denorm_src 0
		.amdhsa_exception_fp_ieee_div_zero 0
		.amdhsa_exception_fp_ieee_overflow 0
		.amdhsa_exception_fp_ieee_underflow 0
		.amdhsa_exception_fp_ieee_inexact 0
		.amdhsa_exception_int_div_zero 0
	.end_amdhsa_kernel
	.section	.text._ZL35rocblas_iamax_iamin_kernel_part2_64ILi1024E22rocblas_reduce_amin_6424rocblas_index_64_value_tIdElEviPT1_PT2_,"axG",@progbits,_ZL35rocblas_iamax_iamin_kernel_part2_64ILi1024E22rocblas_reduce_amin_6424rocblas_index_64_value_tIdElEviPT1_PT2_,comdat
.Lfunc_end13:
	.size	_ZL35rocblas_iamax_iamin_kernel_part2_64ILi1024E22rocblas_reduce_amin_6424rocblas_index_64_value_tIdElEviPT1_PT2_, .Lfunc_end13-_ZL35rocblas_iamax_iamin_kernel_part2_64ILi1024E22rocblas_reduce_amin_6424rocblas_index_64_value_tIdElEviPT1_PT2_
                                        ; -- End function
	.section	.AMDGPU.csdata,"",@progbits
; Kernel info:
; codeLenInByte = 2564
; NumSgprs: 18
; NumVgprs: 20
; ScratchSize: 0
; MemoryBound: 0
; FloatMode: 240
; IeeeMode: 1
; LDSByteSize: 512 bytes/workgroup (compile time only)
; SGPRBlocks: 2
; VGPRBlocks: 2
; NumSGPRsForWavesPerEU: 18
; NumVGPRsForWavesPerEU: 20
; Occupancy: 16
; WaveLimiterHint : 0
; COMPUTE_PGM_RSRC2:SCRATCH_EN: 0
; COMPUTE_PGM_RSRC2:USER_SGPR: 15
; COMPUTE_PGM_RSRC2:TRAP_HANDLER: 0
; COMPUTE_PGM_RSRC2:TGID_X_EN: 1
; COMPUTE_PGM_RSRC2:TGID_Y_EN: 0
; COMPUTE_PGM_RSRC2:TGID_Z_EN: 0
; COMPUTE_PGM_RSRC2:TIDIG_COMP_CNT: 0
	.section	.text._ZL35rocblas_iamax_iamin_kernel_part1_64ILi1024E26rocblas_fetch_amax_amin_64IfE22rocblas_reduce_amin_64PK19rocblas_complex_numIfE24rocblas_index_64_value_tIfEEvlT2_lllPT3_,"axG",@progbits,_ZL35rocblas_iamax_iamin_kernel_part1_64ILi1024E26rocblas_fetch_amax_amin_64IfE22rocblas_reduce_amin_64PK19rocblas_complex_numIfE24rocblas_index_64_value_tIfEEvlT2_lllPT3_,comdat
	.globl	_ZL35rocblas_iamax_iamin_kernel_part1_64ILi1024E26rocblas_fetch_amax_amin_64IfE22rocblas_reduce_amin_64PK19rocblas_complex_numIfE24rocblas_index_64_value_tIfEEvlT2_lllPT3_ ; -- Begin function _ZL35rocblas_iamax_iamin_kernel_part1_64ILi1024E26rocblas_fetch_amax_amin_64IfE22rocblas_reduce_amin_64PK19rocblas_complex_numIfE24rocblas_index_64_value_tIfEEvlT2_lllPT3_
	.p2align	8
	.type	_ZL35rocblas_iamax_iamin_kernel_part1_64ILi1024E26rocblas_fetch_amax_amin_64IfE22rocblas_reduce_amin_64PK19rocblas_complex_numIfE24rocblas_index_64_value_tIfEEvlT2_lllPT3_,@function
_ZL35rocblas_iamax_iamin_kernel_part1_64ILi1024E26rocblas_fetch_amax_amin_64IfE22rocblas_reduce_amin_64PK19rocblas_complex_numIfE24rocblas_index_64_value_tIfEEvlT2_lllPT3_: ; @_ZL35rocblas_iamax_iamin_kernel_part1_64ILi1024E26rocblas_fetch_amax_amin_64IfE22rocblas_reduce_amin_64PK19rocblas_complex_numIfE24rocblas_index_64_value_tIfEEvlT2_lllPT3_
; %bb.0:
	s_clause 0x1
	s_load_b256 s[16:23], s[0:1], 0x0
	s_load_b128 s[8:11], s[0:1], 0x20
	s_mov_b32 s2, s15
	s_waitcnt lgkmcnt(0)
	v_cmp_lt_i64_e64 s3, s[16:17], 1
	s_delay_alu instid0(VALU_DEP_1)
	s_and_b32 vcc_lo, exec_lo, s3
	s_cbranch_vccnz .LBB14_53
; %bb.1:
	v_mbcnt_lo_u32_b32 v3, -1, 0
	v_lshl_or_b32 v14, s14, 10, v0
	s_load_b32 s5, s[0:1], 0x30
	s_mul_i32 s6, s9, s2
	s_mul_hi_u32 s7, s8, s2
	v_cmp_gt_u32_e32 vcc_lo, 16, v3
	s_add_i32 s7, s7, s6
	s_mul_i32 s6, s8, s2
	s_lshl_b64 s[8:9], s[20:21], 3
	s_lshl_b64 s[6:7], s[6:7], 3
	v_cndmask_b32_e64 v1, 0, 1, vcc_lo
	v_cmp_gt_u32_e32 vcc_lo, 24, v3
	v_cmp_gt_u32_e64 s3, 32, v0
	s_mov_b64 s[12:13], 0
                                        ; implicit-def: $vgpr22
	s_delay_alu instid0(VALU_DEP_3) | instskip(SKIP_2) | instid1(VALU_DEP_2)
	v_lshlrev_b32_e32 v1, 4, v1
	v_cndmask_b32_e64 v2, 0, 1, vcc_lo
	v_cmp_gt_u32_e32 vcc_lo, 28, v3
	v_lshlrev_b32_e32 v7, 3, v2
	v_cndmask_b32_e64 v4, 0, 1, vcc_lo
	v_cmp_gt_u32_e32 vcc_lo, 30, v3
	s_waitcnt lgkmcnt(0)
	s_lshl_b32 s15, s5, 10
	s_add_u32 s5, s18, s8
	v_add_lshl_u32 v17, v7, v3, 2
	v_lshlrev_b32_e32 v4, 2, v4
	v_cndmask_b32_e64 v6, 0, 1, vcc_lo
	v_cmp_ne_u32_e32 vcc_lo, 31, v3
	s_addc_u32 s8, s19, s9
	s_add_u32 s5, s5, s6
	s_addc_u32 s6, s8, s7
	v_lshlrev_b32_e32 v6, 1, v6
	v_add_co_ci_u32_e32 v7, vcc_lo, 0, v3, vcc_lo
	v_cmp_ne_u32_e32 vcc_lo, 0, v0
	s_mul_hi_u32 s7, s22, s15
	s_delay_alu instid0(VALU_DEP_3) | instskip(SKIP_3) | instid1(VALU_DEP_2)
	v_add_lshl_u32 v19, v6, v3, 2
	v_lshrrev_b32_e32 v6, 1, v0
	v_lshlrev_b32_e32 v20, 2, v7
	s_xor_b32 s18, vcc_lo, -1
	v_dual_mov_b32 v6, 0 :: v_dual_and_b32 v21, 0x1f0, v6
	v_add_lshl_u32 v16, v1, v3, 2
	v_mad_u64_u32 v[1:2], null, s22, v14, 0
	v_mov_b32_e32 v7, 0
	v_add_lshl_u32 v18, v4, v3, 2
	s_delay_alu instid0(VALU_DEP_3) | instskip(SKIP_1) | instid1(VALU_DEP_1)
	v_mad_u64_u32 v[3:4], null, s23, v14, v[2:3]
	v_dual_mov_b32 v4, 0 :: v_dual_and_b32 v5, 31, v0
	v_dual_mov_b32 v2, v3 :: v_dual_lshlrev_b32 v15, 4, v5
	v_cmp_eq_u32_e64 s4, 0, v5
	s_delay_alu instid0(VALU_DEP_2) | instskip(NEXT) | instid1(VALU_DEP_1)
	v_lshlrev_b64 v[1:2], 3, v[1:2]
	v_add_co_u32 v1, s5, s5, v1
	s_delay_alu instid0(VALU_DEP_1) | instskip(SKIP_1) | instid1(VALU_DEP_2)
	v_add_co_ci_u32_e64 v2, s5, s6, v2, s5
	s_mul_i32 s6, s23, s15
	v_add_co_u32 v8, s5, v1, 4
	s_delay_alu instid0(VALU_DEP_1) | instskip(SKIP_3) | instid1(SALU_CYCLE_1)
	v_add_co_ci_u32_e64 v9, s5, 0, v2, s5
	v_dual_mov_b32 v1, v6 :: v_dual_mov_b32 v2, v7
	s_add_i32 s7, s7, s6
	s_mul_i32 s6, s22, s15
	s_lshl_b64 s[8:9], s[6:7], 3
	s_branch .LBB14_4
.LBB14_2:                               ;   in Loop: Header=BB14_4 Depth=1
	s_or_b32 exec_lo, exec_lo, s7
	s_delay_alu instid0(VALU_DEP_2) | instskip(NEXT) | instid1(VALU_DEP_2)
	v_dual_mov_b32 v1, v10 :: v_dual_mov_b32 v2, v11
	v_mov_b32_e32 v3, v5
.LBB14_3:                               ;   in Loop: Header=BB14_4 Depth=1
	s_or_b32 exec_lo, exec_lo, s6
	s_add_u32 s12, s12, s15
	s_addc_u32 s13, s13, 0
	v_add_co_u32 v8, vcc_lo, v8, s8
	v_cmp_ge_i64_e64 s5, s[12:13], s[16:17]
	v_add_co_ci_u32_e32 v9, vcc_lo, s9, v9, vcc_lo
	s_delay_alu instid0(VALU_DEP_2)
	s_and_b32 vcc_lo, exec_lo, s5
	s_cbranch_vccnz .LBB14_54
.LBB14_4:                               ; =>This Inner Loop Header: Depth=1
	v_add_co_u32 v12, s5, v14, s12
	s_delay_alu instid0(VALU_DEP_1) | instskip(SKIP_2) | instid1(VALU_DEP_2)
	v_add_co_ci_u32_e64 v13, null, 0, s13, s5
	v_dual_mov_b32 v11, v7 :: v_dual_mov_b32 v10, v6
	s_mov_b32 s5, exec_lo
	v_cmpx_gt_i64_e64 s[16:17], v[12:13]
	s_cbranch_execz .LBB14_6
; %bb.5:                                ;   in Loop: Header=BB14_4 Depth=1
	global_load_b64 v[10:11], v[8:9], off offset:-4
	s_waitcnt vmcnt(0)
	v_cmp_gt_f32_e32 vcc_lo, 0, v10
	v_cndmask_b32_e64 v5, v10, -v10, vcc_lo
	v_cmp_gt_f32_e32 vcc_lo, 0, v11
	s_waitcnt lgkmcnt(0)
	v_cndmask_b32_e64 v22, v11, -v11, vcc_lo
	v_add_co_u32 v10, vcc_lo, v12, 1
	v_add_co_ci_u32_e32 v11, vcc_lo, 0, v13, vcc_lo
	s_delay_alu instid0(VALU_DEP_3)
	v_add_f32_e32 v22, v5, v22
.LBB14_6:                               ;   in Loop: Header=BB14_4 Depth=1
	s_or_b32 exec_lo, exec_lo, s5
	s_and_saveexec_b32 s5, s3
	s_cbranch_execz .LBB14_8
; %bb.7:                                ;   in Loop: Header=BB14_4 Depth=1
	v_mov_b32_e32 v5, v4
	ds_store_b64 v15, v[4:5]
	ds_store_b32 v15, v4 offset:8
.LBB14_8:                               ;   in Loop: Header=BB14_4 Depth=1
	s_or_b32 exec_lo, exec_lo, s5
	ds_bpermute_b32 v12, v16, v10
	ds_bpermute_b32 v13, v16, v11
	s_waitcnt lgkmcnt(2)
	ds_bpermute_b32 v23, v16, v22
	v_mov_b32_e32 v5, v22
	s_mov_b32 s6, exec_lo
	s_waitcnt lgkmcnt(0)
	s_barrier
	buffer_gl0_inv
	v_cmpx_ne_u64_e32 0, v[12:13]
	s_cbranch_execz .LBB14_12
; %bb.9:                                ;   in Loop: Header=BB14_4 Depth=1
	v_cmp_ne_u64_e32 vcc_lo, 0, v[10:11]
	v_cmp_ngt_f32_e64 s5, v22, v23
	s_delay_alu instid0(VALU_DEP_1) | instskip(NEXT) | instid1(SALU_CYCLE_1)
	s_and_b32 s5, vcc_lo, s5
	s_and_saveexec_b32 s7, s5
; %bb.10:                               ;   in Loop: Header=BB14_4 Depth=1
	v_cmp_lt_i64_e32 vcc_lo, v[12:13], v[10:11]
	v_cmp_eq_f32_e64 s5, v22, v23
	v_mov_b32_e32 v23, v22
	v_cndmask_b32_e32 v5, v11, v13, vcc_lo
	s_delay_alu instid0(VALU_DEP_3) | instskip(SKIP_1) | instid1(VALU_DEP_2)
	s_and_b32 vcc_lo, s5, vcc_lo
	v_cndmask_b32_e32 v12, v10, v12, vcc_lo
	v_cndmask_b32_e64 v13, v11, v5, s5
; %bb.11:                               ;   in Loop: Header=BB14_4 Depth=1
	s_or_b32 exec_lo, exec_lo, s7
	s_delay_alu instid0(VALU_DEP_2) | instskip(NEXT) | instid1(VALU_DEP_2)
	v_dual_mov_b32 v10, v12 :: v_dual_mov_b32 v5, v23
	v_dual_mov_b32 v22, v23 :: v_dual_mov_b32 v11, v13
.LBB14_12:                              ;   in Loop: Header=BB14_4 Depth=1
	s_or_b32 exec_lo, exec_lo, s6
	ds_bpermute_b32 v12, v17, v10
	ds_bpermute_b32 v13, v17, v11
	;; [unrolled: 1-line block ×3, first 2 shown]
	s_mov_b32 s6, exec_lo
	s_waitcnt lgkmcnt(1)
	v_cmpx_ne_u64_e32 0, v[12:13]
	s_cbranch_execz .LBB14_16
; %bb.13:                               ;   in Loop: Header=BB14_4 Depth=1
	v_cmp_ne_u64_e32 vcc_lo, 0, v[10:11]
	s_waitcnt lgkmcnt(0)
	v_cmp_ngt_f32_e64 s5, v5, v23
	v_mov_b32_e32 v24, v23
	s_delay_alu instid0(VALU_DEP_2) | instskip(NEXT) | instid1(SALU_CYCLE_1)
	s_and_b32 s5, vcc_lo, s5
	s_and_saveexec_b32 s7, s5
; %bb.14:                               ;   in Loop: Header=BB14_4 Depth=1
	v_cmp_lt_i64_e32 vcc_lo, v[12:13], v[10:11]
	v_cmp_eq_f32_e64 s5, v5, v23
	v_dual_mov_b32 v23, v22 :: v_dual_mov_b32 v24, v5
	v_cndmask_b32_e32 v13, v11, v13, vcc_lo
	s_delay_alu instid0(VALU_DEP_3) | instskip(SKIP_1) | instid1(VALU_DEP_2)
	s_and_b32 vcc_lo, s5, vcc_lo
	v_cndmask_b32_e32 v12, v10, v12, vcc_lo
	v_cndmask_b32_e64 v13, v11, v13, s5
; %bb.15:                               ;   in Loop: Header=BB14_4 Depth=1
	s_or_b32 exec_lo, exec_lo, s7
	s_delay_alu instid0(VALU_DEP_2) | instskip(NEXT) | instid1(VALU_DEP_2)
	v_mov_b32_e32 v10, v12
	v_dual_mov_b32 v22, v23 :: v_dual_mov_b32 v11, v13
	v_mov_b32_e32 v5, v24
.LBB14_16:                              ;   in Loop: Header=BB14_4 Depth=1
	s_or_b32 exec_lo, exec_lo, s6
	ds_bpermute_b32 v12, v18, v10
	ds_bpermute_b32 v13, v18, v11
	s_waitcnt lgkmcnt(2)
	ds_bpermute_b32 v23, v18, v22
	s_mov_b32 s6, exec_lo
	s_waitcnt lgkmcnt(1)
	v_cmpx_ne_u64_e32 0, v[12:13]
	s_cbranch_execz .LBB14_20
; %bb.17:                               ;   in Loop: Header=BB14_4 Depth=1
	v_cmp_ne_u64_e32 vcc_lo, 0, v[10:11]
	s_waitcnt lgkmcnt(0)
	v_cmp_ngt_f32_e64 s5, v5, v23
	v_mov_b32_e32 v24, v23
	s_delay_alu instid0(VALU_DEP_2) | instskip(NEXT) | instid1(SALU_CYCLE_1)
	s_and_b32 s5, vcc_lo, s5
	s_and_saveexec_b32 s7, s5
; %bb.18:                               ;   in Loop: Header=BB14_4 Depth=1
	v_cmp_lt_i64_e32 vcc_lo, v[12:13], v[10:11]
	v_cmp_eq_f32_e64 s5, v5, v23
	v_dual_mov_b32 v23, v22 :: v_dual_mov_b32 v24, v5
	v_cndmask_b32_e32 v13, v11, v13, vcc_lo
	s_delay_alu instid0(VALU_DEP_3) | instskip(SKIP_1) | instid1(VALU_DEP_2)
	s_and_b32 vcc_lo, s5, vcc_lo
	v_cndmask_b32_e32 v12, v10, v12, vcc_lo
	v_cndmask_b32_e64 v13, v11, v13, s5
; %bb.19:                               ;   in Loop: Header=BB14_4 Depth=1
	s_or_b32 exec_lo, exec_lo, s7
	s_delay_alu instid0(VALU_DEP_2) | instskip(NEXT) | instid1(VALU_DEP_2)
	v_mov_b32_e32 v10, v12
	v_dual_mov_b32 v22, v23 :: v_dual_mov_b32 v11, v13
	v_mov_b32_e32 v5, v24
.LBB14_20:                              ;   in Loop: Header=BB14_4 Depth=1
	s_or_b32 exec_lo, exec_lo, s6
	ds_bpermute_b32 v12, v19, v10
	ds_bpermute_b32 v13, v19, v11
	s_waitcnt lgkmcnt(2)
	ds_bpermute_b32 v23, v19, v22
	s_mov_b32 s6, exec_lo
	s_waitcnt lgkmcnt(1)
	v_cmpx_ne_u64_e32 0, v[12:13]
	s_cbranch_execz .LBB14_24
; %bb.21:                               ;   in Loop: Header=BB14_4 Depth=1
	v_cmp_ne_u64_e32 vcc_lo, 0, v[10:11]
	s_waitcnt lgkmcnt(0)
	v_cmp_ngt_f32_e64 s5, v5, v23
	v_mov_b32_e32 v24, v23
	s_delay_alu instid0(VALU_DEP_2) | instskip(NEXT) | instid1(SALU_CYCLE_1)
	s_and_b32 s5, vcc_lo, s5
	s_and_saveexec_b32 s7, s5
; %bb.22:                               ;   in Loop: Header=BB14_4 Depth=1
	v_cmp_lt_i64_e32 vcc_lo, v[12:13], v[10:11]
	v_cmp_eq_f32_e64 s5, v5, v23
	v_dual_mov_b32 v23, v22 :: v_dual_mov_b32 v24, v5
	v_cndmask_b32_e32 v13, v11, v13, vcc_lo
	s_delay_alu instid0(VALU_DEP_3) | instskip(SKIP_1) | instid1(VALU_DEP_2)
	s_and_b32 vcc_lo, s5, vcc_lo
	v_cndmask_b32_e32 v12, v10, v12, vcc_lo
	v_cndmask_b32_e64 v13, v11, v13, s5
; %bb.23:                               ;   in Loop: Header=BB14_4 Depth=1
	s_or_b32 exec_lo, exec_lo, s7
	s_delay_alu instid0(VALU_DEP_2) | instskip(NEXT) | instid1(VALU_DEP_2)
	v_mov_b32_e32 v10, v12
	v_dual_mov_b32 v22, v23 :: v_dual_mov_b32 v11, v13
	v_mov_b32_e32 v5, v24
.LBB14_24:                              ;   in Loop: Header=BB14_4 Depth=1
	s_or_b32 exec_lo, exec_lo, s6
	ds_bpermute_b32 v12, v20, v10
	ds_bpermute_b32 v13, v20, v11
	;; [unrolled: 1-line block ×3, first 2 shown]
	s_mov_b32 s19, exec_lo
	s_waitcnt lgkmcnt(1)
	v_cmpx_ne_u64_e32 0, v[12:13]
	s_cbranch_execz .LBB14_26
; %bb.25:                               ;   in Loop: Header=BB14_4 Depth=1
	v_cmp_lt_i64_e32 vcc_lo, v[12:13], v[10:11]
	s_waitcnt lgkmcnt(0)
	v_cmp_eq_f32_e64 s5, v5, v22
	v_cmp_eq_u64_e64 s6, 0, v[10:11]
	v_cmp_gt_f32_e64 s7, v5, v22
	s_delay_alu instid0(VALU_DEP_3) | instskip(NEXT) | instid1(VALU_DEP_1)
	s_and_b32 vcc_lo, s5, vcc_lo
	s_or_b32 s5, s6, s7
	v_cndmask_b32_e32 v11, v11, v13, vcc_lo
	s_or_b32 vcc_lo, s5, vcc_lo
	v_cndmask_b32_e64 v5, v5, v22, s5
	v_cndmask_b32_e32 v10, v10, v12, vcc_lo
	s_delay_alu instid0(VALU_DEP_3)
	v_cndmask_b32_e64 v11, v11, v13, s5
.LBB14_26:                              ;   in Loop: Header=BB14_4 Depth=1
	s_or_b32 exec_lo, exec_lo, s19
	s_and_saveexec_b32 s5, s4
	s_cbranch_execz .LBB14_28
; %bb.27:                               ;   in Loop: Header=BB14_4 Depth=1
	ds_store_b64 v21, v[10:11]
	ds_store_b32 v21, v5 offset:8
.LBB14_28:                              ;   in Loop: Header=BB14_4 Depth=1
	s_or_b32 exec_lo, exec_lo, s5
	v_mov_b32_e32 v10, 0
	s_waitcnt lgkmcnt(0)
	v_dual_mov_b32 v11, 0 :: v_dual_mov_b32 v22, 0
	s_barrier
	buffer_gl0_inv
	s_and_saveexec_b32 s5, s3
	s_cbranch_execz .LBB14_30
; %bb.29:                               ;   in Loop: Header=BB14_4 Depth=1
	ds_load_b64 v[10:11], v15
	ds_load_b32 v22, v15 offset:8
.LBB14_30:                              ;   in Loop: Header=BB14_4 Depth=1
	s_or_b32 exec_lo, exec_lo, s5
	s_and_saveexec_b32 s19, s3
	s_cbranch_execz .LBB14_50
; %bb.31:                               ;   in Loop: Header=BB14_4 Depth=1
	s_waitcnt lgkmcnt(1)
	ds_bpermute_b32 v12, v16, v10
	ds_bpermute_b32 v13, v16, v11
	s_waitcnt lgkmcnt(2)
	ds_bpermute_b32 v23, v16, v22
	v_mov_b32_e32 v5, v22
	s_mov_b32 s6, exec_lo
	s_waitcnt lgkmcnt(1)
	v_cmpx_ne_u64_e32 0, v[12:13]
	s_cbranch_execz .LBB14_35
; %bb.32:                               ;   in Loop: Header=BB14_4 Depth=1
	v_cmp_ne_u64_e32 vcc_lo, 0, v[10:11]
	s_waitcnt lgkmcnt(0)
	v_cmp_ngt_f32_e64 s5, v22, v23
	s_delay_alu instid0(VALU_DEP_1) | instskip(NEXT) | instid1(SALU_CYCLE_1)
	s_and_b32 s5, vcc_lo, s5
	s_and_saveexec_b32 s7, s5
; %bb.33:                               ;   in Loop: Header=BB14_4 Depth=1
	v_cmp_lt_i64_e32 vcc_lo, v[12:13], v[10:11]
	v_cmp_eq_f32_e64 s5, v22, v23
	v_mov_b32_e32 v23, v22
	v_cndmask_b32_e32 v5, v11, v13, vcc_lo
	s_delay_alu instid0(VALU_DEP_3) | instskip(SKIP_1) | instid1(VALU_DEP_2)
	s_and_b32 vcc_lo, s5, vcc_lo
	v_cndmask_b32_e32 v12, v10, v12, vcc_lo
	v_cndmask_b32_e64 v13, v11, v5, s5
; %bb.34:                               ;   in Loop: Header=BB14_4 Depth=1
	s_or_b32 exec_lo, exec_lo, s7
	s_delay_alu instid0(VALU_DEP_2) | instskip(NEXT) | instid1(VALU_DEP_2)
	v_dual_mov_b32 v10, v12 :: v_dual_mov_b32 v5, v23
	v_dual_mov_b32 v22, v23 :: v_dual_mov_b32 v11, v13
.LBB14_35:                              ;   in Loop: Header=BB14_4 Depth=1
	s_or_b32 exec_lo, exec_lo, s6
	ds_bpermute_b32 v12, v17, v10
	ds_bpermute_b32 v13, v17, v11
	s_waitcnt lgkmcnt(2)
	ds_bpermute_b32 v23, v17, v22
	s_mov_b32 s6, exec_lo
	s_waitcnt lgkmcnt(1)
	v_cmpx_ne_u64_e32 0, v[12:13]
	s_cbranch_execz .LBB14_39
; %bb.36:                               ;   in Loop: Header=BB14_4 Depth=1
	v_cmp_ne_u64_e32 vcc_lo, 0, v[10:11]
	s_waitcnt lgkmcnt(0)
	v_cmp_ngt_f32_e64 s5, v5, v23
	v_mov_b32_e32 v24, v23
	s_delay_alu instid0(VALU_DEP_2) | instskip(NEXT) | instid1(SALU_CYCLE_1)
	s_and_b32 s5, vcc_lo, s5
	s_and_saveexec_b32 s7, s5
; %bb.37:                               ;   in Loop: Header=BB14_4 Depth=1
	v_cmp_lt_i64_e32 vcc_lo, v[12:13], v[10:11]
	v_cmp_eq_f32_e64 s5, v5, v23
	v_dual_mov_b32 v23, v22 :: v_dual_mov_b32 v24, v5
	v_cndmask_b32_e32 v13, v11, v13, vcc_lo
	s_delay_alu instid0(VALU_DEP_3) | instskip(SKIP_1) | instid1(VALU_DEP_2)
	s_and_b32 vcc_lo, s5, vcc_lo
	v_cndmask_b32_e32 v12, v10, v12, vcc_lo
	v_cndmask_b32_e64 v13, v11, v13, s5
; %bb.38:                               ;   in Loop: Header=BB14_4 Depth=1
	s_or_b32 exec_lo, exec_lo, s7
	s_delay_alu instid0(VALU_DEP_2) | instskip(NEXT) | instid1(VALU_DEP_2)
	v_mov_b32_e32 v10, v12
	v_dual_mov_b32 v22, v23 :: v_dual_mov_b32 v11, v13
	v_mov_b32_e32 v5, v24
.LBB14_39:                              ;   in Loop: Header=BB14_4 Depth=1
	s_or_b32 exec_lo, exec_lo, s6
	ds_bpermute_b32 v12, v18, v10
	ds_bpermute_b32 v13, v18, v11
	s_waitcnt lgkmcnt(2)
	ds_bpermute_b32 v23, v18, v22
	s_mov_b32 s6, exec_lo
	s_waitcnt lgkmcnt(1)
	v_cmpx_ne_u64_e32 0, v[12:13]
	s_cbranch_execz .LBB14_43
; %bb.40:                               ;   in Loop: Header=BB14_4 Depth=1
	v_cmp_ne_u64_e32 vcc_lo, 0, v[10:11]
	s_waitcnt lgkmcnt(0)
	v_cmp_ngt_f32_e64 s5, v5, v23
	v_mov_b32_e32 v24, v23
	s_delay_alu instid0(VALU_DEP_2) | instskip(NEXT) | instid1(SALU_CYCLE_1)
	s_and_b32 s5, vcc_lo, s5
	s_and_saveexec_b32 s7, s5
; %bb.41:                               ;   in Loop: Header=BB14_4 Depth=1
	v_cmp_lt_i64_e32 vcc_lo, v[12:13], v[10:11]
	v_cmp_eq_f32_e64 s5, v5, v23
	v_dual_mov_b32 v23, v22 :: v_dual_mov_b32 v24, v5
	v_cndmask_b32_e32 v13, v11, v13, vcc_lo
	s_delay_alu instid0(VALU_DEP_3) | instskip(SKIP_1) | instid1(VALU_DEP_2)
	s_and_b32 vcc_lo, s5, vcc_lo
	v_cndmask_b32_e32 v12, v10, v12, vcc_lo
	v_cndmask_b32_e64 v13, v11, v13, s5
; %bb.42:                               ;   in Loop: Header=BB14_4 Depth=1
	s_or_b32 exec_lo, exec_lo, s7
	s_delay_alu instid0(VALU_DEP_2) | instskip(NEXT) | instid1(VALU_DEP_2)
	v_mov_b32_e32 v10, v12
	v_dual_mov_b32 v22, v23 :: v_dual_mov_b32 v11, v13
	v_mov_b32_e32 v5, v24
.LBB14_43:                              ;   in Loop: Header=BB14_4 Depth=1
	;; [unrolled: 33-line block ×3, first 2 shown]
	s_or_b32 exec_lo, exec_lo, s6
	ds_bpermute_b32 v12, v20, v10
	ds_bpermute_b32 v13, v20, v11
	;; [unrolled: 1-line block ×3, first 2 shown]
	s_mov_b32 s20, exec_lo
	s_waitcnt lgkmcnt(1)
	v_cmpx_ne_u64_e32 0, v[12:13]
	s_cbranch_execz .LBB14_49
; %bb.48:                               ;   in Loop: Header=BB14_4 Depth=1
	v_cmp_lt_i64_e32 vcc_lo, v[12:13], v[10:11]
	s_waitcnt lgkmcnt(0)
	v_cmp_eq_f32_e64 s5, v5, v22
	v_cmp_eq_u64_e64 s6, 0, v[10:11]
	v_cmp_gt_f32_e64 s7, v5, v22
	s_delay_alu instid0(VALU_DEP_3) | instskip(NEXT) | instid1(VALU_DEP_1)
	s_and_b32 vcc_lo, s5, vcc_lo
	s_or_b32 s5, s6, s7
	v_cndmask_b32_e32 v11, v11, v13, vcc_lo
	s_or_b32 vcc_lo, s5, vcc_lo
	v_cndmask_b32_e64 v5, v5, v22, s5
	v_cndmask_b32_e32 v10, v10, v12, vcc_lo
	s_delay_alu instid0(VALU_DEP_3)
	v_cndmask_b32_e64 v11, v11, v13, s5
.LBB14_49:                              ;   in Loop: Header=BB14_4 Depth=1
	s_or_b32 exec_lo, exec_lo, s20
	s_waitcnt lgkmcnt(0)
	v_mov_b32_e32 v22, v5
.LBB14_50:                              ;   in Loop: Header=BB14_4 Depth=1
	s_or_b32 exec_lo, exec_lo, s19
	s_waitcnt lgkmcnt(1)
	v_cmp_ne_u64_e32 vcc_lo, 0, v[10:11]
	s_and_b32 s5, s18, vcc_lo
	s_delay_alu instid0(SALU_CYCLE_1)
	s_and_saveexec_b32 s6, s5
	s_cbranch_execz .LBB14_3
; %bb.51:                               ;   in Loop: Header=BB14_4 Depth=1
	v_cmp_ne_u64_e32 vcc_lo, 0, v[1:2]
	s_waitcnt lgkmcnt(0)
	v_cmp_nlt_f32_e64 s5, v22, v3
	v_mov_b32_e32 v5, v22
	s_delay_alu instid0(VALU_DEP_2) | instskip(NEXT) | instid1(SALU_CYCLE_1)
	s_and_b32 s5, vcc_lo, s5
	s_and_saveexec_b32 s7, s5
	s_cbranch_execz .LBB14_2
; %bb.52:                               ;   in Loop: Header=BB14_4 Depth=1
	v_cmp_lt_i64_e32 vcc_lo, v[10:11], v[1:2]
	v_cmp_eq_f32_e64 s5, v3, v22
	v_cndmask_b32_e32 v5, v2, v11, vcc_lo
	s_delay_alu instid0(VALU_DEP_2) | instskip(SKIP_1) | instid1(VALU_DEP_2)
	s_and_b32 vcc_lo, s5, vcc_lo
	v_cndmask_b32_e32 v10, v1, v10, vcc_lo
	v_cndmask_b32_e64 v11, v2, v5, s5
	v_mov_b32_e32 v5, v3
	s_branch .LBB14_2
.LBB14_53:
	v_mov_b32_e32 v1, 0
	v_mov_b32_e32 v2, 0
.LBB14_54:
	s_mov_b32 s15, 0
	s_mov_b32 s3, exec_lo
	v_cmpx_eq_u32_e32 0, v0
	s_cbranch_execz .LBB14_56
; %bb.55:
	s_load_b32 s0, s[0:1], 0x30
	v_mov_b32_e32 v0, 0
	s_waitcnt lgkmcnt(0)
	s_mul_hi_u32 s1, s0, s2
	s_mul_i32 s0, s0, s2
	s_delay_alu instid0(SALU_CYCLE_1) | instskip(NEXT) | instid1(SALU_CYCLE_1)
	s_lshl_b64 s[0:1], s[0:1], 4
	s_add_u32 s2, s10, s0
	s_addc_u32 s3, s11, s1
	s_lshl_b64 s[0:1], s[14:15], 4
	s_delay_alu instid0(SALU_CYCLE_1)
	s_add_u32 s0, s2, s0
	s_addc_u32 s1, s3, s1
	global_store_b96 v0, v[1:3], s[0:1]
.LBB14_56:
	s_nop 0
	s_sendmsg sendmsg(MSG_DEALLOC_VGPRS)
	s_endpgm
	.section	.rodata,"a",@progbits
	.p2align	6, 0x0
	.amdhsa_kernel _ZL35rocblas_iamax_iamin_kernel_part1_64ILi1024E26rocblas_fetch_amax_amin_64IfE22rocblas_reduce_amin_64PK19rocblas_complex_numIfE24rocblas_index_64_value_tIfEEvlT2_lllPT3_
		.amdhsa_group_segment_fixed_size 512
		.amdhsa_private_segment_fixed_size 0
		.amdhsa_kernarg_size 304
		.amdhsa_user_sgpr_count 14
		.amdhsa_user_sgpr_dispatch_ptr 0
		.amdhsa_user_sgpr_queue_ptr 0
		.amdhsa_user_sgpr_kernarg_segment_ptr 1
		.amdhsa_user_sgpr_dispatch_id 0
		.amdhsa_user_sgpr_private_segment_size 0
		.amdhsa_wavefront_size32 1
		.amdhsa_uses_dynamic_stack 0
		.amdhsa_enable_private_segment 0
		.amdhsa_system_sgpr_workgroup_id_x 1
		.amdhsa_system_sgpr_workgroup_id_y 0
		.amdhsa_system_sgpr_workgroup_id_z 1
		.amdhsa_system_sgpr_workgroup_info 0
		.amdhsa_system_vgpr_workitem_id 0
		.amdhsa_next_free_vgpr 25
		.amdhsa_next_free_sgpr 24
		.amdhsa_reserve_vcc 1
		.amdhsa_float_round_mode_32 0
		.amdhsa_float_round_mode_16_64 0
		.amdhsa_float_denorm_mode_32 3
		.amdhsa_float_denorm_mode_16_64 3
		.amdhsa_dx10_clamp 1
		.amdhsa_ieee_mode 1
		.amdhsa_fp16_overflow 0
		.amdhsa_workgroup_processor_mode 1
		.amdhsa_memory_ordered 1
		.amdhsa_forward_progress 0
		.amdhsa_shared_vgpr_count 0
		.amdhsa_exception_fp_ieee_invalid_op 0
		.amdhsa_exception_fp_denorm_src 0
		.amdhsa_exception_fp_ieee_div_zero 0
		.amdhsa_exception_fp_ieee_overflow 0
		.amdhsa_exception_fp_ieee_underflow 0
		.amdhsa_exception_fp_ieee_inexact 0
		.amdhsa_exception_int_div_zero 0
	.end_amdhsa_kernel
	.section	.text._ZL35rocblas_iamax_iamin_kernel_part1_64ILi1024E26rocblas_fetch_amax_amin_64IfE22rocblas_reduce_amin_64PK19rocblas_complex_numIfE24rocblas_index_64_value_tIfEEvlT2_lllPT3_,"axG",@progbits,_ZL35rocblas_iamax_iamin_kernel_part1_64ILi1024E26rocblas_fetch_amax_amin_64IfE22rocblas_reduce_amin_64PK19rocblas_complex_numIfE24rocblas_index_64_value_tIfEEvlT2_lllPT3_,comdat
.Lfunc_end14:
	.size	_ZL35rocblas_iamax_iamin_kernel_part1_64ILi1024E26rocblas_fetch_amax_amin_64IfE22rocblas_reduce_amin_64PK19rocblas_complex_numIfE24rocblas_index_64_value_tIfEEvlT2_lllPT3_, .Lfunc_end14-_ZL35rocblas_iamax_iamin_kernel_part1_64ILi1024E26rocblas_fetch_amax_amin_64IfE22rocblas_reduce_amin_64PK19rocblas_complex_numIfE24rocblas_index_64_value_tIfEEvlT2_lllPT3_
                                        ; -- End function
	.section	.AMDGPU.csdata,"",@progbits
; Kernel info:
; codeLenInByte = 2340
; NumSgprs: 26
; NumVgprs: 25
; ScratchSize: 0
; MemoryBound: 0
; FloatMode: 240
; IeeeMode: 1
; LDSByteSize: 512 bytes/workgroup (compile time only)
; SGPRBlocks: 3
; VGPRBlocks: 3
; NumSGPRsForWavesPerEU: 26
; NumVGPRsForWavesPerEU: 25
; Occupancy: 16
; WaveLimiterHint : 0
; COMPUTE_PGM_RSRC2:SCRATCH_EN: 0
; COMPUTE_PGM_RSRC2:USER_SGPR: 14
; COMPUTE_PGM_RSRC2:TRAP_HANDLER: 0
; COMPUTE_PGM_RSRC2:TGID_X_EN: 1
; COMPUTE_PGM_RSRC2:TGID_Y_EN: 0
; COMPUTE_PGM_RSRC2:TGID_Z_EN: 1
; COMPUTE_PGM_RSRC2:TIDIG_COMP_CNT: 0
	.section	.text._ZL35rocblas_iamax_iamin_kernel_part1_64ILi1024E26rocblas_fetch_amax_amin_64IdE22rocblas_reduce_amin_64PK19rocblas_complex_numIdE24rocblas_index_64_value_tIdEEvlT2_lllPT3_,"axG",@progbits,_ZL35rocblas_iamax_iamin_kernel_part1_64ILi1024E26rocblas_fetch_amax_amin_64IdE22rocblas_reduce_amin_64PK19rocblas_complex_numIdE24rocblas_index_64_value_tIdEEvlT2_lllPT3_,comdat
	.globl	_ZL35rocblas_iamax_iamin_kernel_part1_64ILi1024E26rocblas_fetch_amax_amin_64IdE22rocblas_reduce_amin_64PK19rocblas_complex_numIdE24rocblas_index_64_value_tIdEEvlT2_lllPT3_ ; -- Begin function _ZL35rocblas_iamax_iamin_kernel_part1_64ILi1024E26rocblas_fetch_amax_amin_64IdE22rocblas_reduce_amin_64PK19rocblas_complex_numIdE24rocblas_index_64_value_tIdEEvlT2_lllPT3_
	.p2align	8
	.type	_ZL35rocblas_iamax_iamin_kernel_part1_64ILi1024E26rocblas_fetch_amax_amin_64IdE22rocblas_reduce_amin_64PK19rocblas_complex_numIdE24rocblas_index_64_value_tIdEEvlT2_lllPT3_,@function
_ZL35rocblas_iamax_iamin_kernel_part1_64ILi1024E26rocblas_fetch_amax_amin_64IdE22rocblas_reduce_amin_64PK19rocblas_complex_numIdE24rocblas_index_64_value_tIdEEvlT2_lllPT3_: ; @_ZL35rocblas_iamax_iamin_kernel_part1_64ILi1024E26rocblas_fetch_amax_amin_64IdE22rocblas_reduce_amin_64PK19rocblas_complex_numIdE24rocblas_index_64_value_tIdEEvlT2_lllPT3_
; %bb.0:
	s_clause 0x1
	s_load_b256 s[16:23], s[0:1], 0x0
	s_load_b128 s[8:11], s[0:1], 0x20
	s_mov_b32 s2, s15
	s_waitcnt lgkmcnt(0)
	v_cmp_lt_i64_e64 s3, s[16:17], 1
	s_delay_alu instid0(VALU_DEP_1)
	s_and_b32 vcc_lo, exec_lo, s3
	s_cbranch_vccnz .LBB15_53
; %bb.1:
	v_mbcnt_lo_u32_b32 v3, -1, 0
	v_lshl_or_b32 v23, s14, 10, v0
	s_load_b32 s5, s[0:1], 0x30
	s_mul_i32 s6, s9, s2
	s_mul_hi_u32 s7, s8, s2
	v_cmp_gt_u32_e32 vcc_lo, 16, v3
	s_add_i32 s7, s7, s6
	s_mul_i32 s6, s8, s2
	s_lshl_b64 s[8:9], s[20:21], 4
	s_lshl_b64 s[6:7], s[6:7], 4
	v_cndmask_b32_e64 v1, 0, 1, vcc_lo
	v_cmp_gt_u32_e32 vcc_lo, 24, v3
	v_cmp_gt_u32_e64 s3, 32, v0
	s_mov_b64 s[12:13], 0
                                        ; implicit-def: $vgpr9_vgpr10
	v_mov_b32_e32 v15, 0
	v_dual_mov_b32 v16, 0 :: v_dual_lshlrev_b32 v1, 4, v1
	v_cndmask_b32_e64 v2, 0, 1, vcc_lo
	v_cmp_gt_u32_e32 vcc_lo, 28, v3
	s_delay_alu instid0(VALU_DEP_3) | instskip(NEXT) | instid1(VALU_DEP_3)
	v_add_lshl_u32 v25, v1, v3, 2
	v_lshlrev_b32_e32 v7, 3, v2
	v_cndmask_b32_e64 v4, 0, 1, vcc_lo
	v_cmp_gt_u32_e32 vcc_lo, 30, v3
	v_mad_u64_u32 v[1:2], null, s22, v23, 0
	s_waitcnt lgkmcnt(0)
	s_lshl_b32 s15, s5, 10
	v_lshlrev_b32_e32 v4, 2, v4
	v_cndmask_b32_e64 v6, 0, 1, vcc_lo
	v_cmp_ne_u32_e32 vcc_lo, 31, v3
	v_add_lshl_u32 v26, v7, v3, 2
	s_add_u32 s5, s18, s8
	v_add_lshl_u32 v27, v4, v3, 2
	v_lshlrev_b32_e32 v6, 1, v6
	v_add_co_ci_u32_e32 v7, vcc_lo, 0, v3, vcc_lo
	s_addc_u32 s8, s19, s9
	s_add_u32 s5, s5, s6
	s_delay_alu instid0(VALU_DEP_2)
	v_add_lshl_u32 v28, v6, v3, 2
	v_mad_u64_u32 v[3:4], null, s23, v23, v[2:3]
	v_and_b32_e32 v5, 31, v0
	s_addc_u32 s6, s8, s7
	v_lshrrev_b32_e32 v6, 1, v0
	v_cmp_ne_u32_e32 vcc_lo, 0, v0
	s_mul_hi_u32 s7, s22, s15
	s_delay_alu instid0(VALU_DEP_4) | instskip(SKIP_3) | instid1(VALU_DEP_4)
	v_dual_mov_b32 v2, v3 :: v_dual_lshlrev_b32 v29, 2, v7
	v_lshlrev_b32_e32 v24, 4, v5
	v_cmp_eq_u32_e64 s4, 0, v5
	v_dual_mov_b32 v5, 0 :: v_dual_and_b32 v30, 0x1f0, v6
	v_lshlrev_b64 v[1:2], 4, v[1:2]
	s_xor_b32 s18, vcc_lo, -1
	s_delay_alu instid0(VALU_DEP_1) | instskip(NEXT) | instid1(VALU_DEP_1)
	v_add_co_u32 v1, s5, s5, v1
	v_add_co_ci_u32_e64 v2, s5, s6, v2, s5
	s_mul_i32 s6, s23, s15
	s_delay_alu instid0(VALU_DEP_2) | instskip(NEXT) | instid1(VALU_DEP_1)
	v_add_co_u32 v17, s5, v1, 8
	v_add_co_ci_u32_e64 v18, s5, 0, v2, s5
	v_dual_mov_b32 v1, v15 :: v_dual_mov_b32 v2, v16
	s_add_i32 s7, s7, s6
	s_mul_i32 s6, s22, s15
	s_delay_alu instid0(SALU_CYCLE_1)
	s_lshl_b64 s[8:9], s[6:7], 4
	s_branch .LBB15_4
.LBB15_2:                               ;   in Loop: Header=BB15_4 Depth=1
	s_or_b32 exec_lo, exec_lo, s7
	s_delay_alu instid0(VALU_DEP_1)
	v_dual_mov_b32 v1, v7 :: v_dual_mov_b32 v2, v8
	v_dual_mov_b32 v3, v11 :: v_dual_mov_b32 v4, v12
.LBB15_3:                               ;   in Loop: Header=BB15_4 Depth=1
	s_or_b32 exec_lo, exec_lo, s6
	s_add_u32 s12, s12, s15
	s_addc_u32 s13, s13, 0
	v_add_co_u32 v17, vcc_lo, v17, s8
	v_cmp_ge_i64_e64 s5, s[12:13], s[16:17]
	v_add_co_ci_u32_e32 v18, vcc_lo, s9, v18, vcc_lo
	s_delay_alu instid0(VALU_DEP_2)
	s_and_b32 vcc_lo, exec_lo, s5
	s_cbranch_vccnz .LBB15_54
.LBB15_4:                               ; =>This Inner Loop Header: Depth=1
	v_add_co_u32 v6, s5, v23, s12
	s_delay_alu instid0(VALU_DEP_1) | instskip(SKIP_2) | instid1(VALU_DEP_2)
	v_add_co_ci_u32_e64 v7, null, 0, s13, s5
	v_dual_mov_b32 v11, v15 :: v_dual_mov_b32 v12, v16
	s_mov_b32 s5, exec_lo
	v_cmpx_gt_i64_e64 s[16:17], v[6:7]
	s_cbranch_execz .LBB15_6
; %bb.5:                                ;   in Loop: Header=BB15_4 Depth=1
	global_load_b128 v[8:11], v[17:18], off offset:-8
	s_waitcnt vmcnt(0)
	v_cmp_gt_f64_e32 vcc_lo, 0, v[8:9]
	v_xor_b32_e32 v12, 0x80000000, v9
	v_xor_b32_e32 v13, 0x80000000, v11
	s_delay_alu instid0(VALU_DEP_2) | instskip(SKIP_1) | instid1(VALU_DEP_3)
	v_cndmask_b32_e32 v9, v9, v12, vcc_lo
	v_cmp_gt_f64_e32 vcc_lo, 0, v[10:11]
	v_cndmask_b32_e32 v11, v11, v13, vcc_lo
	s_delay_alu instid0(VALU_DEP_1)
	v_add_f64 v[9:10], v[8:9], v[10:11]
	v_add_co_u32 v11, vcc_lo, v6, 1
	v_add_co_ci_u32_e32 v12, vcc_lo, 0, v7, vcc_lo
.LBB15_6:                               ;   in Loop: Header=BB15_4 Depth=1
	s_or_b32 exec_lo, exec_lo, s5
	s_and_saveexec_b32 s5, s3
	s_cbranch_execz .LBB15_8
; %bb.7:                                ;   in Loop: Header=BB15_4 Depth=1
	v_mov_b32_e32 v6, v5
	v_mov_b32_e32 v7, v5
	;; [unrolled: 1-line block ×3, first 2 shown]
	ds_store_b128 v24, v[5:8]
.LBB15_8:                               ;   in Loop: Header=BB15_4 Depth=1
	s_or_b32 exec_lo, exec_lo, s5
	ds_bpermute_b32 v6, v25, v11
	ds_bpermute_b32 v7, v25, v12
	;; [unrolled: 1-line block ×4, first 2 shown]
	v_dual_mov_b32 v14, v10 :: v_dual_mov_b32 v13, v9
	s_mov_b32 s6, exec_lo
	s_waitcnt lgkmcnt(0)
	s_barrier
	buffer_gl0_inv
	v_cmpx_ne_u64_e32 0, v[6:7]
	s_cbranch_execz .LBB15_12
; %bb.9:                                ;   in Loop: Header=BB15_4 Depth=1
	v_cmp_ngt_f64_e32 vcc_lo, v[9:10], v[19:20]
	v_cmp_ne_u64_e64 s5, 0, v[11:12]
	v_dual_mov_b32 v13, v19 :: v_dual_mov_b32 v14, v20
	s_delay_alu instid0(VALU_DEP_2) | instskip(NEXT) | instid1(SALU_CYCLE_1)
	s_and_b32 s5, s5, vcc_lo
	s_and_saveexec_b32 s7, s5
; %bb.10:                               ;   in Loop: Header=BB15_4 Depth=1
	v_cmp_eq_f64_e64 s5, v[9:10], v[19:20]
	v_cmp_lt_i64_e32 vcc_lo, v[6:7], v[11:12]
	v_dual_mov_b32 v19, v9 :: v_dual_mov_b32 v20, v10
	v_dual_mov_b32 v14, v10 :: v_dual_cndmask_b32 v7, v12, v7
	s_delay_alu instid0(VALU_DEP_4) | instskip(SKIP_1) | instid1(VALU_DEP_2)
	s_and_b32 vcc_lo, s5, vcc_lo
	v_dual_mov_b32 v13, v9 :: v_dual_cndmask_b32 v6, v11, v6
	v_cndmask_b32_e64 v7, v12, v7, s5
; %bb.11:                               ;   in Loop: Header=BB15_4 Depth=1
	s_or_b32 exec_lo, exec_lo, s7
	v_dual_mov_b32 v10, v20 :: v_dual_mov_b32 v9, v19
	s_delay_alu instid0(VALU_DEP_2)
	v_dual_mov_b32 v12, v7 :: v_dual_mov_b32 v11, v6
.LBB15_12:                              ;   in Loop: Header=BB15_4 Depth=1
	s_or_b32 exec_lo, exec_lo, s6
	ds_bpermute_b32 v6, v26, v11
	ds_bpermute_b32 v7, v26, v12
	;; [unrolled: 1-line block ×4, first 2 shown]
	s_mov_b32 s6, exec_lo
	s_waitcnt lgkmcnt(2)
	v_cmpx_ne_u64_e32 0, v[6:7]
	s_cbranch_execz .LBB15_16
; %bb.13:                               ;   in Loop: Header=BB15_4 Depth=1
	s_waitcnt lgkmcnt(0)
	v_cmp_ngt_f64_e32 vcc_lo, v[13:14], v[19:20]
	v_cmp_ne_u64_e64 s5, 0, v[11:12]
	v_dual_mov_b32 v22, v20 :: v_dual_mov_b32 v21, v19
	s_delay_alu instid0(VALU_DEP_2) | instskip(NEXT) | instid1(SALU_CYCLE_1)
	s_and_b32 s5, s5, vcc_lo
	s_and_saveexec_b32 s7, s5
; %bb.14:                               ;   in Loop: Header=BB15_4 Depth=1
	v_cmp_eq_f64_e64 s5, v[13:14], v[19:20]
	v_cmp_lt_i64_e32 vcc_lo, v[6:7], v[11:12]
	v_dual_mov_b32 v19, v9 :: v_dual_mov_b32 v20, v10
	v_dual_mov_b32 v22, v14 :: v_dual_cndmask_b32 v7, v12, v7
	s_delay_alu instid0(VALU_DEP_4) | instskip(SKIP_1) | instid1(VALU_DEP_2)
	s_and_b32 vcc_lo, s5, vcc_lo
	v_dual_mov_b32 v21, v13 :: v_dual_cndmask_b32 v6, v11, v6
	v_cndmask_b32_e64 v7, v12, v7, s5
; %bb.15:                               ;   in Loop: Header=BB15_4 Depth=1
	s_or_b32 exec_lo, exec_lo, s7
	v_dual_mov_b32 v10, v20 :: v_dual_mov_b32 v9, v19
	s_delay_alu instid0(VALU_DEP_2)
	v_dual_mov_b32 v12, v7 :: v_dual_mov_b32 v11, v6
	v_dual_mov_b32 v13, v21 :: v_dual_mov_b32 v14, v22
.LBB15_16:                              ;   in Loop: Header=BB15_4 Depth=1
	s_or_b32 exec_lo, exec_lo, s6
	ds_bpermute_b32 v6, v27, v11
	ds_bpermute_b32 v7, v27, v12
	s_waitcnt lgkmcnt(3)
	ds_bpermute_b32 v19, v27, v9
	s_waitcnt lgkmcnt(3)
	ds_bpermute_b32 v20, v27, v10
	s_mov_b32 s6, exec_lo
	s_waitcnt lgkmcnt(2)
	v_cmpx_ne_u64_e32 0, v[6:7]
	s_cbranch_execz .LBB15_20
; %bb.17:                               ;   in Loop: Header=BB15_4 Depth=1
	s_waitcnt lgkmcnt(0)
	v_cmp_ngt_f64_e32 vcc_lo, v[13:14], v[19:20]
	v_cmp_ne_u64_e64 s5, 0, v[11:12]
	v_dual_mov_b32 v22, v20 :: v_dual_mov_b32 v21, v19
	s_delay_alu instid0(VALU_DEP_2) | instskip(NEXT) | instid1(SALU_CYCLE_1)
	s_and_b32 s5, s5, vcc_lo
	s_and_saveexec_b32 s7, s5
; %bb.18:                               ;   in Loop: Header=BB15_4 Depth=1
	v_cmp_eq_f64_e64 s5, v[13:14], v[19:20]
	v_cmp_lt_i64_e32 vcc_lo, v[6:7], v[11:12]
	v_dual_mov_b32 v19, v9 :: v_dual_mov_b32 v20, v10
	v_dual_mov_b32 v22, v14 :: v_dual_cndmask_b32 v7, v12, v7
	s_delay_alu instid0(VALU_DEP_4) | instskip(SKIP_1) | instid1(VALU_DEP_2)
	s_and_b32 vcc_lo, s5, vcc_lo
	v_dual_mov_b32 v21, v13 :: v_dual_cndmask_b32 v6, v11, v6
	v_cndmask_b32_e64 v7, v12, v7, s5
; %bb.19:                               ;   in Loop: Header=BB15_4 Depth=1
	s_or_b32 exec_lo, exec_lo, s7
	v_dual_mov_b32 v10, v20 :: v_dual_mov_b32 v9, v19
	s_delay_alu instid0(VALU_DEP_2)
	v_dual_mov_b32 v12, v7 :: v_dual_mov_b32 v11, v6
	v_dual_mov_b32 v13, v21 :: v_dual_mov_b32 v14, v22
.LBB15_20:                              ;   in Loop: Header=BB15_4 Depth=1
	s_or_b32 exec_lo, exec_lo, s6
	ds_bpermute_b32 v6, v28, v11
	ds_bpermute_b32 v7, v28, v12
	s_waitcnt lgkmcnt(3)
	ds_bpermute_b32 v19, v28, v9
	s_waitcnt lgkmcnt(3)
	ds_bpermute_b32 v20, v28, v10
	s_mov_b32 s6, exec_lo
	s_waitcnt lgkmcnt(2)
	v_cmpx_ne_u64_e32 0, v[6:7]
	s_cbranch_execz .LBB15_24
; %bb.21:                               ;   in Loop: Header=BB15_4 Depth=1
	s_waitcnt lgkmcnt(0)
	v_cmp_ngt_f64_e32 vcc_lo, v[13:14], v[19:20]
	v_cmp_ne_u64_e64 s5, 0, v[11:12]
	v_dual_mov_b32 v22, v20 :: v_dual_mov_b32 v21, v19
	s_delay_alu instid0(VALU_DEP_2) | instskip(NEXT) | instid1(SALU_CYCLE_1)
	s_and_b32 s5, s5, vcc_lo
	s_and_saveexec_b32 s7, s5
; %bb.22:                               ;   in Loop: Header=BB15_4 Depth=1
	v_cmp_eq_f64_e64 s5, v[13:14], v[19:20]
	v_cmp_lt_i64_e32 vcc_lo, v[6:7], v[11:12]
	v_dual_mov_b32 v19, v9 :: v_dual_mov_b32 v20, v10
	v_dual_mov_b32 v22, v14 :: v_dual_cndmask_b32 v7, v12, v7
	s_delay_alu instid0(VALU_DEP_4) | instskip(SKIP_1) | instid1(VALU_DEP_2)
	s_and_b32 vcc_lo, s5, vcc_lo
	v_dual_mov_b32 v21, v13 :: v_dual_cndmask_b32 v6, v11, v6
	v_cndmask_b32_e64 v7, v12, v7, s5
; %bb.23:                               ;   in Loop: Header=BB15_4 Depth=1
	s_or_b32 exec_lo, exec_lo, s7
	v_dual_mov_b32 v10, v20 :: v_dual_mov_b32 v9, v19
	s_delay_alu instid0(VALU_DEP_2)
	v_dual_mov_b32 v12, v7 :: v_dual_mov_b32 v11, v6
	v_dual_mov_b32 v13, v21 :: v_dual_mov_b32 v14, v22
.LBB15_24:                              ;   in Loop: Header=BB15_4 Depth=1
	s_or_b32 exec_lo, exec_lo, s6
	s_waitcnt lgkmcnt(1)
	ds_bpermute_b32 v19, v29, v11
	s_waitcnt lgkmcnt(1)
	ds_bpermute_b32 v20, v29, v12
	ds_bpermute_b32 v6, v29, v9
	ds_bpermute_b32 v7, v29, v10
	s_mov_b32 s19, exec_lo
	s_waitcnt lgkmcnt(2)
	v_cmpx_ne_u64_e32 0, v[19:20]
	s_cbranch_execz .LBB15_26
; %bb.25:                               ;   in Loop: Header=BB15_4 Depth=1
	s_waitcnt lgkmcnt(0)
	v_cmp_eq_f64_e32 vcc_lo, v[13:14], v[6:7]
	v_cmp_gt_f64_e64 s5, v[13:14], v[6:7]
	v_cmp_lt_i64_e64 s6, v[19:20], v[11:12]
	v_cmp_eq_u64_e64 s7, 0, v[11:12]
	s_delay_alu instid0(VALU_DEP_2) | instskip(NEXT) | instid1(VALU_DEP_1)
	s_and_b32 vcc_lo, vcc_lo, s6
	s_or_b32 s5, s7, s5
	v_cndmask_b32_e32 v8, v12, v20, vcc_lo
	s_or_b32 vcc_lo, s5, vcc_lo
	v_cndmask_b32_e64 v14, v14, v7, s5
	v_cndmask_b32_e32 v11, v11, v19, vcc_lo
	v_cndmask_b32_e64 v13, v13, v6, s5
	v_cndmask_b32_e64 v12, v8, v20, s5
.LBB15_26:                              ;   in Loop: Header=BB15_4 Depth=1
	s_or_b32 exec_lo, exec_lo, s19
	s_and_saveexec_b32 s5, s4
	s_cbranch_execz .LBB15_28
; %bb.27:                               ;   in Loop: Header=BB15_4 Depth=1
	ds_store_b128 v30, v[11:14]
.LBB15_28:                              ;   in Loop: Header=BB15_4 Depth=1
	s_or_b32 exec_lo, exec_lo, s5
	s_waitcnt lgkmcnt(0)
	v_mov_b32_e32 v7, 0
	v_dual_mov_b32 v8, 0 :: v_dual_mov_b32 v9, 0
	v_mov_b32_e32 v10, 0
	s_barrier
	buffer_gl0_inv
	s_and_saveexec_b32 s5, s3
	s_cbranch_execz .LBB15_30
; %bb.29:                               ;   in Loop: Header=BB15_4 Depth=1
	ds_load_b128 v[7:10], v24
.LBB15_30:                              ;   in Loop: Header=BB15_4 Depth=1
	s_or_b32 exec_lo, exec_lo, s5
	s_and_saveexec_b32 s19, s3
	s_cbranch_execz .LBB15_50
; %bb.31:                               ;   in Loop: Header=BB15_4 Depth=1
	s_waitcnt lgkmcnt(0)
	ds_bpermute_b32 v13, v25, v7
	ds_bpermute_b32 v14, v25, v8
	;; [unrolled: 1-line block ×4, first 2 shown]
	v_dual_mov_b32 v12, v10 :: v_dual_mov_b32 v11, v9
	s_mov_b32 s6, exec_lo
	s_waitcnt lgkmcnt(2)
	v_cmpx_ne_u64_e32 0, v[13:14]
	s_cbranch_execz .LBB15_35
; %bb.32:                               ;   in Loop: Header=BB15_4 Depth=1
	s_waitcnt lgkmcnt(0)
	v_cmp_ngt_f64_e32 vcc_lo, v[9:10], v[19:20]
	v_cmp_ne_u64_e64 s5, 0, v[7:8]
	v_dual_mov_b32 v11, v19 :: v_dual_mov_b32 v12, v20
	s_delay_alu instid0(VALU_DEP_2) | instskip(NEXT) | instid1(SALU_CYCLE_1)
	s_and_b32 s5, s5, vcc_lo
	s_and_saveexec_b32 s7, s5
; %bb.33:                               ;   in Loop: Header=BB15_4 Depth=1
	v_cmp_eq_f64_e64 s5, v[9:10], v[19:20]
	v_cmp_lt_i64_e32 vcc_lo, v[13:14], v[7:8]
	v_dual_mov_b32 v12, v10 :: v_dual_mov_b32 v19, v9
	v_dual_mov_b32 v11, v9 :: v_dual_mov_b32 v20, v10
	v_cndmask_b32_e32 v6, v8, v14, vcc_lo
	s_and_b32 vcc_lo, s5, vcc_lo
	s_delay_alu instid0(VALU_DEP_1)
	v_cndmask_b32_e64 v14, v8, v6, s5
	v_cndmask_b32_e32 v13, v7, v13, vcc_lo
; %bb.34:                               ;   in Loop: Header=BB15_4 Depth=1
	s_or_b32 exec_lo, exec_lo, s7
	v_dual_mov_b32 v10, v20 :: v_dual_mov_b32 v9, v19
	s_delay_alu instid0(VALU_DEP_2)
	v_dual_mov_b32 v7, v13 :: v_dual_mov_b32 v8, v14
.LBB15_35:                              ;   in Loop: Header=BB15_4 Depth=1
	s_or_b32 exec_lo, exec_lo, s6
	ds_bpermute_b32 v13, v26, v7
	ds_bpermute_b32 v14, v26, v8
	s_waitcnt lgkmcnt(3)
	ds_bpermute_b32 v19, v26, v9
	s_waitcnt lgkmcnt(3)
	ds_bpermute_b32 v20, v26, v10
	s_mov_b32 s6, exec_lo
	s_waitcnt lgkmcnt(2)
	v_cmpx_ne_u64_e32 0, v[13:14]
	s_cbranch_execz .LBB15_39
; %bb.36:                               ;   in Loop: Header=BB15_4 Depth=1
	s_waitcnt lgkmcnt(0)
	v_cmp_ngt_f64_e32 vcc_lo, v[11:12], v[19:20]
	v_cmp_ne_u64_e64 s5, 0, v[7:8]
	v_dual_mov_b32 v22, v20 :: v_dual_mov_b32 v21, v19
	s_delay_alu instid0(VALU_DEP_2) | instskip(NEXT) | instid1(SALU_CYCLE_1)
	s_and_b32 s5, s5, vcc_lo
	s_and_saveexec_b32 s7, s5
; %bb.37:                               ;   in Loop: Header=BB15_4 Depth=1
	v_cmp_eq_f64_e64 s5, v[11:12], v[19:20]
	v_cmp_lt_i64_e32 vcc_lo, v[13:14], v[7:8]
	v_dual_mov_b32 v22, v12 :: v_dual_mov_b32 v19, v9
	v_dual_mov_b32 v21, v11 :: v_dual_mov_b32 v20, v10
	v_cndmask_b32_e32 v6, v8, v14, vcc_lo
	s_and_b32 vcc_lo, s5, vcc_lo
	s_delay_alu instid0(VALU_DEP_1)
	v_cndmask_b32_e64 v14, v8, v6, s5
	v_cndmask_b32_e32 v13, v7, v13, vcc_lo
; %bb.38:                               ;   in Loop: Header=BB15_4 Depth=1
	s_or_b32 exec_lo, exec_lo, s7
	v_dual_mov_b32 v10, v20 :: v_dual_mov_b32 v9, v19
	s_delay_alu instid0(VALU_DEP_2)
	v_dual_mov_b32 v7, v13 :: v_dual_mov_b32 v8, v14
	v_dual_mov_b32 v11, v21 :: v_dual_mov_b32 v12, v22
.LBB15_39:                              ;   in Loop: Header=BB15_4 Depth=1
	s_or_b32 exec_lo, exec_lo, s6
	ds_bpermute_b32 v13, v27, v7
	ds_bpermute_b32 v14, v27, v8
	s_waitcnt lgkmcnt(3)
	ds_bpermute_b32 v19, v27, v9
	s_waitcnt lgkmcnt(3)
	ds_bpermute_b32 v20, v27, v10
	s_mov_b32 s6, exec_lo
	s_waitcnt lgkmcnt(2)
	v_cmpx_ne_u64_e32 0, v[13:14]
	s_cbranch_execz .LBB15_43
; %bb.40:                               ;   in Loop: Header=BB15_4 Depth=1
	s_waitcnt lgkmcnt(0)
	v_cmp_ngt_f64_e32 vcc_lo, v[11:12], v[19:20]
	v_cmp_ne_u64_e64 s5, 0, v[7:8]
	v_dual_mov_b32 v22, v20 :: v_dual_mov_b32 v21, v19
	s_delay_alu instid0(VALU_DEP_2) | instskip(NEXT) | instid1(SALU_CYCLE_1)
	s_and_b32 s5, s5, vcc_lo
	s_and_saveexec_b32 s7, s5
; %bb.41:                               ;   in Loop: Header=BB15_4 Depth=1
	v_cmp_eq_f64_e64 s5, v[11:12], v[19:20]
	v_cmp_lt_i64_e32 vcc_lo, v[13:14], v[7:8]
	v_dual_mov_b32 v22, v12 :: v_dual_mov_b32 v19, v9
	v_dual_mov_b32 v21, v11 :: v_dual_mov_b32 v20, v10
	v_cndmask_b32_e32 v6, v8, v14, vcc_lo
	s_and_b32 vcc_lo, s5, vcc_lo
	s_delay_alu instid0(VALU_DEP_1)
	v_cndmask_b32_e64 v14, v8, v6, s5
	v_cndmask_b32_e32 v13, v7, v13, vcc_lo
; %bb.42:                               ;   in Loop: Header=BB15_4 Depth=1
	s_or_b32 exec_lo, exec_lo, s7
	v_dual_mov_b32 v10, v20 :: v_dual_mov_b32 v9, v19
	s_delay_alu instid0(VALU_DEP_2)
	v_dual_mov_b32 v7, v13 :: v_dual_mov_b32 v8, v14
	v_dual_mov_b32 v11, v21 :: v_dual_mov_b32 v12, v22
.LBB15_43:                              ;   in Loop: Header=BB15_4 Depth=1
	;; [unrolled: 36-line block ×3, first 2 shown]
	s_or_b32 exec_lo, exec_lo, s6
	ds_bpermute_b32 v13, v29, v7
	ds_bpermute_b32 v14, v29, v8
	ds_bpermute_b32 v9, v29, v9
	ds_bpermute_b32 v10, v29, v10
	s_mov_b32 s20, exec_lo
	s_waitcnt lgkmcnt(2)
	v_cmpx_ne_u64_e32 0, v[13:14]
	s_cbranch_execz .LBB15_49
; %bb.48:                               ;   in Loop: Header=BB15_4 Depth=1
	s_waitcnt lgkmcnt(0)
	v_cmp_eq_f64_e32 vcc_lo, v[11:12], v[9:10]
	v_cmp_gt_f64_e64 s5, v[11:12], v[9:10]
	v_cmp_lt_i64_e64 s6, v[13:14], v[7:8]
	v_cmp_eq_u64_e64 s7, 0, v[7:8]
	s_delay_alu instid0(VALU_DEP_2) | instskip(NEXT) | instid1(VALU_DEP_1)
	s_and_b32 vcc_lo, vcc_lo, s6
	s_or_b32 s5, s7, s5
	v_cndmask_b32_e32 v6, v8, v14, vcc_lo
	s_or_b32 vcc_lo, s5, vcc_lo
	v_cndmask_b32_e64 v12, v12, v10, s5
	v_cndmask_b32_e32 v7, v7, v13, vcc_lo
	v_cndmask_b32_e64 v11, v11, v9, s5
	v_cndmask_b32_e64 v8, v6, v14, s5
.LBB15_49:                              ;   in Loop: Header=BB15_4 Depth=1
	s_or_b32 exec_lo, exec_lo, s20
	s_waitcnt lgkmcnt(0)
	s_delay_alu instid0(VALU_DEP_2)
	v_dual_mov_b32 v9, v11 :: v_dual_mov_b32 v10, v12
.LBB15_50:                              ;   in Loop: Header=BB15_4 Depth=1
	s_or_b32 exec_lo, exec_lo, s19
	s_waitcnt lgkmcnt(0)
	v_cmp_ne_u64_e32 vcc_lo, 0, v[7:8]
	s_and_b32 s5, s18, vcc_lo
	s_delay_alu instid0(SALU_CYCLE_1)
	s_and_saveexec_b32 s6, s5
	s_cbranch_execz .LBB15_3
; %bb.51:                               ;   in Loop: Header=BB15_4 Depth=1
	v_cmp_nlt_f64_e32 vcc_lo, v[9:10], v[3:4]
	v_cmp_ne_u64_e64 s5, 0, v[1:2]
	v_dual_mov_b32 v12, v10 :: v_dual_mov_b32 v11, v9
	s_delay_alu instid0(VALU_DEP_2) | instskip(NEXT) | instid1(SALU_CYCLE_1)
	s_and_b32 s5, s5, vcc_lo
	s_and_saveexec_b32 s7, s5
	s_cbranch_execz .LBB15_2
; %bb.52:                               ;   in Loop: Header=BB15_4 Depth=1
	v_cmp_eq_f64_e64 s5, v[3:4], v[9:10]
	v_cmp_lt_i64_e32 vcc_lo, v[7:8], v[1:2]
	v_dual_mov_b32 v12, v4 :: v_dual_mov_b32 v11, v3
	v_cndmask_b32_e32 v6, v2, v8, vcc_lo
	s_delay_alu instid0(VALU_DEP_4) | instskip(SKIP_1) | instid1(VALU_DEP_2)
	s_and_b32 vcc_lo, s5, vcc_lo
	v_cndmask_b32_e32 v7, v1, v7, vcc_lo
	v_cndmask_b32_e64 v8, v2, v6, s5
	s_branch .LBB15_2
.LBB15_53:
	v_mov_b32_e32 v1, 0
	v_mov_b32_e32 v2, 0
.LBB15_54:
	s_mov_b32 s15, 0
	s_mov_b32 s3, exec_lo
	v_cmpx_eq_u32_e32 0, v0
	s_cbranch_execz .LBB15_56
; %bb.55:
	s_load_b32 s0, s[0:1], 0x30
	v_mov_b32_e32 v0, 0
	s_waitcnt lgkmcnt(0)
	s_mul_hi_u32 s1, s0, s2
	s_mul_i32 s0, s0, s2
	s_delay_alu instid0(SALU_CYCLE_1) | instskip(NEXT) | instid1(SALU_CYCLE_1)
	s_lshl_b64 s[0:1], s[0:1], 4
	s_add_u32 s2, s10, s0
	s_addc_u32 s3, s11, s1
	s_lshl_b64 s[0:1], s[14:15], 4
	s_delay_alu instid0(SALU_CYCLE_1)
	s_add_u32 s0, s2, s0
	s_addc_u32 s1, s3, s1
	global_store_b128 v0, v[1:4], s[0:1]
.LBB15_56:
	s_nop 0
	s_sendmsg sendmsg(MSG_DEALLOC_VGPRS)
	s_endpgm
	.section	.rodata,"a",@progbits
	.p2align	6, 0x0
	.amdhsa_kernel _ZL35rocblas_iamax_iamin_kernel_part1_64ILi1024E26rocblas_fetch_amax_amin_64IdE22rocblas_reduce_amin_64PK19rocblas_complex_numIdE24rocblas_index_64_value_tIdEEvlT2_lllPT3_
		.amdhsa_group_segment_fixed_size 512
		.amdhsa_private_segment_fixed_size 0
		.amdhsa_kernarg_size 304
		.amdhsa_user_sgpr_count 14
		.amdhsa_user_sgpr_dispatch_ptr 0
		.amdhsa_user_sgpr_queue_ptr 0
		.amdhsa_user_sgpr_kernarg_segment_ptr 1
		.amdhsa_user_sgpr_dispatch_id 0
		.amdhsa_user_sgpr_private_segment_size 0
		.amdhsa_wavefront_size32 1
		.amdhsa_uses_dynamic_stack 0
		.amdhsa_enable_private_segment 0
		.amdhsa_system_sgpr_workgroup_id_x 1
		.amdhsa_system_sgpr_workgroup_id_y 0
		.amdhsa_system_sgpr_workgroup_id_z 1
		.amdhsa_system_sgpr_workgroup_info 0
		.amdhsa_system_vgpr_workitem_id 0
		.amdhsa_next_free_vgpr 31
		.amdhsa_next_free_sgpr 24
		.amdhsa_reserve_vcc 1
		.amdhsa_float_round_mode_32 0
		.amdhsa_float_round_mode_16_64 0
		.amdhsa_float_denorm_mode_32 3
		.amdhsa_float_denorm_mode_16_64 3
		.amdhsa_dx10_clamp 1
		.amdhsa_ieee_mode 1
		.amdhsa_fp16_overflow 0
		.amdhsa_workgroup_processor_mode 1
		.amdhsa_memory_ordered 1
		.amdhsa_forward_progress 0
		.amdhsa_shared_vgpr_count 0
		.amdhsa_exception_fp_ieee_invalid_op 0
		.amdhsa_exception_fp_denorm_src 0
		.amdhsa_exception_fp_ieee_div_zero 0
		.amdhsa_exception_fp_ieee_overflow 0
		.amdhsa_exception_fp_ieee_underflow 0
		.amdhsa_exception_fp_ieee_inexact 0
		.amdhsa_exception_int_div_zero 0
	.end_amdhsa_kernel
	.section	.text._ZL35rocblas_iamax_iamin_kernel_part1_64ILi1024E26rocblas_fetch_amax_amin_64IdE22rocblas_reduce_amin_64PK19rocblas_complex_numIdE24rocblas_index_64_value_tIdEEvlT2_lllPT3_,"axG",@progbits,_ZL35rocblas_iamax_iamin_kernel_part1_64ILi1024E26rocblas_fetch_amax_amin_64IdE22rocblas_reduce_amin_64PK19rocblas_complex_numIdE24rocblas_index_64_value_tIdEEvlT2_lllPT3_,comdat
.Lfunc_end15:
	.size	_ZL35rocblas_iamax_iamin_kernel_part1_64ILi1024E26rocblas_fetch_amax_amin_64IdE22rocblas_reduce_amin_64PK19rocblas_complex_numIdE24rocblas_index_64_value_tIdEEvlT2_lllPT3_, .Lfunc_end15-_ZL35rocblas_iamax_iamin_kernel_part1_64ILi1024E26rocblas_fetch_amax_amin_64IdE22rocblas_reduce_amin_64PK19rocblas_complex_numIdE24rocblas_index_64_value_tIdEEvlT2_lllPT3_
                                        ; -- End function
	.section	.AMDGPU.csdata,"",@progbits
; Kernel info:
; codeLenInByte = 2632
; NumSgprs: 26
; NumVgprs: 31
; ScratchSize: 0
; MemoryBound: 0
; FloatMode: 240
; IeeeMode: 1
; LDSByteSize: 512 bytes/workgroup (compile time only)
; SGPRBlocks: 3
; VGPRBlocks: 3
; NumSGPRsForWavesPerEU: 26
; NumVGPRsForWavesPerEU: 31
; Occupancy: 16
; WaveLimiterHint : 0
; COMPUTE_PGM_RSRC2:SCRATCH_EN: 0
; COMPUTE_PGM_RSRC2:USER_SGPR: 14
; COMPUTE_PGM_RSRC2:TRAP_HANDLER: 0
; COMPUTE_PGM_RSRC2:TGID_X_EN: 1
; COMPUTE_PGM_RSRC2:TGID_Y_EN: 0
; COMPUTE_PGM_RSRC2:TGID_Z_EN: 1
; COMPUTE_PGM_RSRC2:TIDIG_COMP_CNT: 0
	.section	.text._ZL35rocblas_iamax_iamin_kernel_part1_64ILi1024E26rocblas_fetch_amax_amin_64IfE22rocblas_reduce_amin_64PKPKf24rocblas_index_64_value_tIfEEvlT2_lllPT3_,"axG",@progbits,_ZL35rocblas_iamax_iamin_kernel_part1_64ILi1024E26rocblas_fetch_amax_amin_64IfE22rocblas_reduce_amin_64PKPKf24rocblas_index_64_value_tIfEEvlT2_lllPT3_,comdat
	.globl	_ZL35rocblas_iamax_iamin_kernel_part1_64ILi1024E26rocblas_fetch_amax_amin_64IfE22rocblas_reduce_amin_64PKPKf24rocblas_index_64_value_tIfEEvlT2_lllPT3_ ; -- Begin function _ZL35rocblas_iamax_iamin_kernel_part1_64ILi1024E26rocblas_fetch_amax_amin_64IfE22rocblas_reduce_amin_64PKPKf24rocblas_index_64_value_tIfEEvlT2_lllPT3_
	.p2align	8
	.type	_ZL35rocblas_iamax_iamin_kernel_part1_64ILi1024E26rocblas_fetch_amax_amin_64IfE22rocblas_reduce_amin_64PKPKf24rocblas_index_64_value_tIfEEvlT2_lllPT3_,@function
_ZL35rocblas_iamax_iamin_kernel_part1_64ILi1024E26rocblas_fetch_amax_amin_64IfE22rocblas_reduce_amin_64PKPKf24rocblas_index_64_value_tIfEEvlT2_lllPT3_: ; @_ZL35rocblas_iamax_iamin_kernel_part1_64ILi1024E26rocblas_fetch_amax_amin_64IfE22rocblas_reduce_amin_64PKPKf24rocblas_index_64_value_tIfEEvlT2_lllPT3_
; %bb.0:
	s_load_b256 s[16:23], s[0:1], 0x0
	s_mov_b32 s8, s15
	s_mov_b32 s9, 0
	s_waitcnt lgkmcnt(0)
	v_cmp_lt_i64_e64 s2, s[16:17], 1
	s_delay_alu instid0(VALU_DEP_1)
	s_and_b32 vcc_lo, exec_lo, s2
	s_cbranch_vccnz .LBB16_53
; %bb.1:
	v_mbcnt_lo_u32_b32 v5, -1, 0
	v_lshl_or_b32 v15, s14, 10, v0
	s_lshl_b64 s[2:3], s[8:9], 3
	s_load_b32 s6, s[0:1], 0x30
	s_add_u32 s4, s18, s2
	v_cmp_gt_u32_e32 vcc_lo, 16, v5
	s_addc_u32 s5, s19, s3
	v_and_b32_e32 v6, 31, v0
	s_load_b64 s[4:5], s[4:5], 0x0
	s_lshl_b64 s[10:11], s[20:21], 2
	v_cndmask_b32_e64 v1, 0, 1, vcc_lo
	v_cmp_gt_u32_e32 vcc_lo, 24, v5
	v_lshlrev_b32_e32 v14, 4, v6
	v_cmp_eq_u32_e64 s3, 0, v6
	v_cmp_gt_u32_e64 s2, 32, v0
	v_lshlrev_b32_e32 v3, 4, v1
	v_mad_u64_u32 v[1:2], null, s22, v15, 0
	v_cndmask_b32_e64 v4, 0, 1, vcc_lo
	v_cmp_gt_u32_e32 vcc_lo, 28, v5
	s_delay_alu instid0(VALU_DEP_4) | instskip(SKIP_1) | instid1(VALU_DEP_3)
	v_add_lshl_u32 v16, v3, v5, 2
	s_mov_b64 s[12:13], 0
                                        ; implicit-def: $vgpr22
	v_lshlrev_b32_e32 v9, 3, v4
	v_mad_u64_u32 v[3:4], null, s23, v15, v[2:3]
	v_cndmask_b32_e64 v7, 0, 1, vcc_lo
	v_lshrrev_b32_e32 v2, 1, v0
	v_cmp_gt_u32_e32 vcc_lo, 30, v5
	s_waitcnt lgkmcnt(0)
	s_lshl_b32 s7, s6, 10
	s_add_u32 s4, s4, s10
	v_lshlrev_b32_e32 v7, 2, v7
	v_dual_mov_b32 v2, v3 :: v_dual_and_b32 v21, 0x1f0, v2
	v_cndmask_b32_e64 v8, 0, 1, vcc_lo
	v_cmp_ne_u32_e32 vcc_lo, 31, v5
	s_delay_alu instid0(VALU_DEP_4)
	v_add_lshl_u32 v18, v7, v5, 2
	v_mov_b32_e32 v6, 0
	v_lshlrev_b64 v[1:2], 2, v[1:2]
	v_dual_mov_b32 v7, 0 :: v_dual_lshlrev_b32 v8, 1, v8
	v_add_co_ci_u32_e32 v10, vcc_lo, 0, v5, vcc_lo
	s_addc_u32 s5, s5, s11
	v_cmp_ne_u32_e32 vcc_lo, 0, v0
	s_delay_alu instid0(VALU_DEP_3)
	v_add_lshl_u32 v19, v8, v5, 2
	v_add_co_u32 v8, s4, s4, v1
	v_add_lshl_u32 v17, v9, v5, 2
	s_mul_i32 s6, s23, s7
	s_mul_hi_u32 s9, s22, s7
	v_add_co_ci_u32_e64 v9, s4, s5, v2, s4
	v_dual_mov_b32 v1, v6 :: v_dual_lshlrev_b32 v20, 2, v10
	v_mov_b32_e32 v4, 0
	v_mov_b32_e32 v2, v7
	s_add_i32 s5, s9, s6
	s_mul_i32 s4, s22, s7
	s_xor_b32 s9, vcc_lo, -1
	s_lshl_b64 s[10:11], s[4:5], 2
	s_branch .LBB16_4
.LBB16_2:                               ;   in Loop: Header=BB16_4 Depth=1
	s_or_b32 exec_lo, exec_lo, s6
	s_delay_alu instid0(VALU_DEP_2) | instskip(NEXT) | instid1(VALU_DEP_2)
	v_dual_mov_b32 v1, v10 :: v_dual_mov_b32 v2, v11
	v_mov_b32_e32 v3, v5
.LBB16_3:                               ;   in Loop: Header=BB16_4 Depth=1
	s_or_b32 exec_lo, exec_lo, s5
	s_add_u32 s12, s12, s7
	s_addc_u32 s13, s13, 0
	v_add_co_u32 v8, vcc_lo, v8, s10
	v_cmp_ge_i64_e64 s4, s[12:13], s[16:17]
	v_add_co_ci_u32_e32 v9, vcc_lo, s11, v9, vcc_lo
	s_delay_alu instid0(VALU_DEP_2)
	s_and_b32 vcc_lo, exec_lo, s4
	s_cbranch_vccnz .LBB16_54
.LBB16_4:                               ; =>This Inner Loop Header: Depth=1
	v_add_co_u32 v12, s4, v15, s12
	s_delay_alu instid0(VALU_DEP_1) | instskip(SKIP_2) | instid1(VALU_DEP_2)
	v_add_co_ci_u32_e64 v13, null, 0, s13, s4
	v_dual_mov_b32 v11, v7 :: v_dual_mov_b32 v10, v6
	s_mov_b32 s4, exec_lo
	v_cmpx_gt_i64_e64 s[16:17], v[12:13]
	s_cbranch_execz .LBB16_6
; %bb.5:                                ;   in Loop: Header=BB16_4 Depth=1
	global_load_b32 v5, v[8:9], off
	v_add_co_u32 v10, vcc_lo, v12, 1
	v_add_co_ci_u32_e32 v11, vcc_lo, 0, v13, vcc_lo
	s_waitcnt vmcnt(0)
	v_cmp_gt_f32_e32 vcc_lo, 0, v5
	s_waitcnt lgkmcnt(0)
	v_cndmask_b32_e64 v22, v5, -v5, vcc_lo
.LBB16_6:                               ;   in Loop: Header=BB16_4 Depth=1
	s_or_b32 exec_lo, exec_lo, s4
	s_and_saveexec_b32 s4, s2
	s_cbranch_execz .LBB16_8
; %bb.7:                                ;   in Loop: Header=BB16_4 Depth=1
	v_mov_b32_e32 v5, v4
	ds_store_b64 v14, v[4:5]
	ds_store_b32 v14, v4 offset:8
.LBB16_8:                               ;   in Loop: Header=BB16_4 Depth=1
	s_or_b32 exec_lo, exec_lo, s4
	ds_bpermute_b32 v12, v16, v10
	ds_bpermute_b32 v13, v16, v11
	s_waitcnt lgkmcnt(2)
	ds_bpermute_b32 v23, v16, v22
	v_mov_b32_e32 v5, v22
	s_mov_b32 s5, exec_lo
	s_waitcnt lgkmcnt(0)
	s_barrier
	buffer_gl0_inv
	v_cmpx_ne_u64_e32 0, v[12:13]
	s_cbranch_execz .LBB16_12
; %bb.9:                                ;   in Loop: Header=BB16_4 Depth=1
	v_cmp_ne_u64_e32 vcc_lo, 0, v[10:11]
	v_cmp_ngt_f32_e64 s4, v22, v23
	s_delay_alu instid0(VALU_DEP_1) | instskip(NEXT) | instid1(SALU_CYCLE_1)
	s_and_b32 s4, vcc_lo, s4
	s_and_saveexec_b32 s6, s4
; %bb.10:                               ;   in Loop: Header=BB16_4 Depth=1
	v_cmp_lt_i64_e32 vcc_lo, v[12:13], v[10:11]
	v_cmp_eq_f32_e64 s4, v22, v23
	v_mov_b32_e32 v23, v22
	v_cndmask_b32_e32 v5, v11, v13, vcc_lo
	s_delay_alu instid0(VALU_DEP_3) | instskip(SKIP_1) | instid1(VALU_DEP_2)
	s_and_b32 vcc_lo, s4, vcc_lo
	v_cndmask_b32_e32 v12, v10, v12, vcc_lo
	v_cndmask_b32_e64 v13, v11, v5, s4
; %bb.11:                               ;   in Loop: Header=BB16_4 Depth=1
	s_or_b32 exec_lo, exec_lo, s6
	s_delay_alu instid0(VALU_DEP_2) | instskip(NEXT) | instid1(VALU_DEP_2)
	v_dual_mov_b32 v10, v12 :: v_dual_mov_b32 v5, v23
	v_dual_mov_b32 v22, v23 :: v_dual_mov_b32 v11, v13
.LBB16_12:                              ;   in Loop: Header=BB16_4 Depth=1
	s_or_b32 exec_lo, exec_lo, s5
	ds_bpermute_b32 v12, v17, v10
	ds_bpermute_b32 v13, v17, v11
	;; [unrolled: 1-line block ×3, first 2 shown]
	s_mov_b32 s5, exec_lo
	s_waitcnt lgkmcnt(1)
	v_cmpx_ne_u64_e32 0, v[12:13]
	s_cbranch_execz .LBB16_16
; %bb.13:                               ;   in Loop: Header=BB16_4 Depth=1
	v_cmp_ne_u64_e32 vcc_lo, 0, v[10:11]
	s_waitcnt lgkmcnt(0)
	v_cmp_ngt_f32_e64 s4, v5, v23
	v_mov_b32_e32 v24, v23
	s_delay_alu instid0(VALU_DEP_2) | instskip(NEXT) | instid1(SALU_CYCLE_1)
	s_and_b32 s4, vcc_lo, s4
	s_and_saveexec_b32 s6, s4
; %bb.14:                               ;   in Loop: Header=BB16_4 Depth=1
	v_cmp_lt_i64_e32 vcc_lo, v[12:13], v[10:11]
	v_cmp_eq_f32_e64 s4, v5, v23
	v_dual_mov_b32 v23, v22 :: v_dual_mov_b32 v24, v5
	v_cndmask_b32_e32 v13, v11, v13, vcc_lo
	s_delay_alu instid0(VALU_DEP_3) | instskip(SKIP_1) | instid1(VALU_DEP_2)
	s_and_b32 vcc_lo, s4, vcc_lo
	v_cndmask_b32_e32 v12, v10, v12, vcc_lo
	v_cndmask_b32_e64 v13, v11, v13, s4
; %bb.15:                               ;   in Loop: Header=BB16_4 Depth=1
	s_or_b32 exec_lo, exec_lo, s6
	s_delay_alu instid0(VALU_DEP_2) | instskip(NEXT) | instid1(VALU_DEP_2)
	v_mov_b32_e32 v10, v12
	v_dual_mov_b32 v22, v23 :: v_dual_mov_b32 v11, v13
	v_mov_b32_e32 v5, v24
.LBB16_16:                              ;   in Loop: Header=BB16_4 Depth=1
	s_or_b32 exec_lo, exec_lo, s5
	ds_bpermute_b32 v12, v18, v10
	ds_bpermute_b32 v13, v18, v11
	s_waitcnt lgkmcnt(2)
	ds_bpermute_b32 v23, v18, v22
	s_mov_b32 s5, exec_lo
	s_waitcnt lgkmcnt(1)
	v_cmpx_ne_u64_e32 0, v[12:13]
	s_cbranch_execz .LBB16_20
; %bb.17:                               ;   in Loop: Header=BB16_4 Depth=1
	v_cmp_ne_u64_e32 vcc_lo, 0, v[10:11]
	s_waitcnt lgkmcnt(0)
	v_cmp_ngt_f32_e64 s4, v5, v23
	v_mov_b32_e32 v24, v23
	s_delay_alu instid0(VALU_DEP_2) | instskip(NEXT) | instid1(SALU_CYCLE_1)
	s_and_b32 s4, vcc_lo, s4
	s_and_saveexec_b32 s6, s4
; %bb.18:                               ;   in Loop: Header=BB16_4 Depth=1
	v_cmp_lt_i64_e32 vcc_lo, v[12:13], v[10:11]
	v_cmp_eq_f32_e64 s4, v5, v23
	v_dual_mov_b32 v23, v22 :: v_dual_mov_b32 v24, v5
	v_cndmask_b32_e32 v13, v11, v13, vcc_lo
	s_delay_alu instid0(VALU_DEP_3) | instskip(SKIP_1) | instid1(VALU_DEP_2)
	s_and_b32 vcc_lo, s4, vcc_lo
	v_cndmask_b32_e32 v12, v10, v12, vcc_lo
	v_cndmask_b32_e64 v13, v11, v13, s4
; %bb.19:                               ;   in Loop: Header=BB16_4 Depth=1
	s_or_b32 exec_lo, exec_lo, s6
	s_delay_alu instid0(VALU_DEP_2) | instskip(NEXT) | instid1(VALU_DEP_2)
	v_mov_b32_e32 v10, v12
	v_dual_mov_b32 v22, v23 :: v_dual_mov_b32 v11, v13
	v_mov_b32_e32 v5, v24
.LBB16_20:                              ;   in Loop: Header=BB16_4 Depth=1
	s_or_b32 exec_lo, exec_lo, s5
	ds_bpermute_b32 v12, v19, v10
	ds_bpermute_b32 v13, v19, v11
	s_waitcnt lgkmcnt(2)
	ds_bpermute_b32 v23, v19, v22
	s_mov_b32 s5, exec_lo
	s_waitcnt lgkmcnt(1)
	v_cmpx_ne_u64_e32 0, v[12:13]
	s_cbranch_execz .LBB16_24
; %bb.21:                               ;   in Loop: Header=BB16_4 Depth=1
	v_cmp_ne_u64_e32 vcc_lo, 0, v[10:11]
	s_waitcnt lgkmcnt(0)
	v_cmp_ngt_f32_e64 s4, v5, v23
	v_mov_b32_e32 v24, v23
	s_delay_alu instid0(VALU_DEP_2) | instskip(NEXT) | instid1(SALU_CYCLE_1)
	s_and_b32 s4, vcc_lo, s4
	s_and_saveexec_b32 s6, s4
; %bb.22:                               ;   in Loop: Header=BB16_4 Depth=1
	v_cmp_lt_i64_e32 vcc_lo, v[12:13], v[10:11]
	v_cmp_eq_f32_e64 s4, v5, v23
	v_dual_mov_b32 v23, v22 :: v_dual_mov_b32 v24, v5
	v_cndmask_b32_e32 v13, v11, v13, vcc_lo
	s_delay_alu instid0(VALU_DEP_3) | instskip(SKIP_1) | instid1(VALU_DEP_2)
	s_and_b32 vcc_lo, s4, vcc_lo
	v_cndmask_b32_e32 v12, v10, v12, vcc_lo
	v_cndmask_b32_e64 v13, v11, v13, s4
; %bb.23:                               ;   in Loop: Header=BB16_4 Depth=1
	s_or_b32 exec_lo, exec_lo, s6
	s_delay_alu instid0(VALU_DEP_2) | instskip(NEXT) | instid1(VALU_DEP_2)
	v_mov_b32_e32 v10, v12
	v_dual_mov_b32 v22, v23 :: v_dual_mov_b32 v11, v13
	v_mov_b32_e32 v5, v24
.LBB16_24:                              ;   in Loop: Header=BB16_4 Depth=1
	s_or_b32 exec_lo, exec_lo, s5
	ds_bpermute_b32 v12, v20, v10
	ds_bpermute_b32 v13, v20, v11
	;; [unrolled: 1-line block ×3, first 2 shown]
	s_mov_b32 s15, exec_lo
	s_waitcnt lgkmcnt(1)
	v_cmpx_ne_u64_e32 0, v[12:13]
	s_cbranch_execz .LBB16_26
; %bb.25:                               ;   in Loop: Header=BB16_4 Depth=1
	v_cmp_lt_i64_e32 vcc_lo, v[12:13], v[10:11]
	s_waitcnt lgkmcnt(0)
	v_cmp_eq_f32_e64 s4, v5, v22
	v_cmp_eq_u64_e64 s5, 0, v[10:11]
	v_cmp_gt_f32_e64 s6, v5, v22
	s_delay_alu instid0(VALU_DEP_3) | instskip(NEXT) | instid1(VALU_DEP_1)
	s_and_b32 vcc_lo, s4, vcc_lo
	s_or_b32 s4, s5, s6
	v_cndmask_b32_e32 v11, v11, v13, vcc_lo
	s_or_b32 vcc_lo, s4, vcc_lo
	v_cndmask_b32_e64 v5, v5, v22, s4
	v_cndmask_b32_e32 v10, v10, v12, vcc_lo
	s_delay_alu instid0(VALU_DEP_3)
	v_cndmask_b32_e64 v11, v11, v13, s4
.LBB16_26:                              ;   in Loop: Header=BB16_4 Depth=1
	s_or_b32 exec_lo, exec_lo, s15
	s_and_saveexec_b32 s4, s3
	s_cbranch_execz .LBB16_28
; %bb.27:                               ;   in Loop: Header=BB16_4 Depth=1
	ds_store_b64 v21, v[10:11]
	ds_store_b32 v21, v5 offset:8
.LBB16_28:                              ;   in Loop: Header=BB16_4 Depth=1
	s_or_b32 exec_lo, exec_lo, s4
	v_mov_b32_e32 v10, 0
	s_waitcnt lgkmcnt(0)
	v_dual_mov_b32 v11, 0 :: v_dual_mov_b32 v22, 0
	s_barrier
	buffer_gl0_inv
	s_and_saveexec_b32 s4, s2
	s_cbranch_execz .LBB16_30
; %bb.29:                               ;   in Loop: Header=BB16_4 Depth=1
	ds_load_b64 v[10:11], v14
	ds_load_b32 v22, v14 offset:8
.LBB16_30:                              ;   in Loop: Header=BB16_4 Depth=1
	s_or_b32 exec_lo, exec_lo, s4
	s_and_saveexec_b32 s15, s2
	s_cbranch_execz .LBB16_50
; %bb.31:                               ;   in Loop: Header=BB16_4 Depth=1
	s_waitcnt lgkmcnt(1)
	ds_bpermute_b32 v12, v16, v10
	ds_bpermute_b32 v13, v16, v11
	s_waitcnt lgkmcnt(2)
	ds_bpermute_b32 v23, v16, v22
	v_mov_b32_e32 v5, v22
	s_mov_b32 s5, exec_lo
	s_waitcnt lgkmcnt(1)
	v_cmpx_ne_u64_e32 0, v[12:13]
	s_cbranch_execz .LBB16_35
; %bb.32:                               ;   in Loop: Header=BB16_4 Depth=1
	v_cmp_ne_u64_e32 vcc_lo, 0, v[10:11]
	s_waitcnt lgkmcnt(0)
	v_cmp_ngt_f32_e64 s4, v22, v23
	s_delay_alu instid0(VALU_DEP_1) | instskip(NEXT) | instid1(SALU_CYCLE_1)
	s_and_b32 s4, vcc_lo, s4
	s_and_saveexec_b32 s6, s4
; %bb.33:                               ;   in Loop: Header=BB16_4 Depth=1
	v_cmp_lt_i64_e32 vcc_lo, v[12:13], v[10:11]
	v_cmp_eq_f32_e64 s4, v22, v23
	v_mov_b32_e32 v23, v22
	v_cndmask_b32_e32 v5, v11, v13, vcc_lo
	s_delay_alu instid0(VALU_DEP_3) | instskip(SKIP_1) | instid1(VALU_DEP_2)
	s_and_b32 vcc_lo, s4, vcc_lo
	v_cndmask_b32_e32 v12, v10, v12, vcc_lo
	v_cndmask_b32_e64 v13, v11, v5, s4
; %bb.34:                               ;   in Loop: Header=BB16_4 Depth=1
	s_or_b32 exec_lo, exec_lo, s6
	s_delay_alu instid0(VALU_DEP_2) | instskip(NEXT) | instid1(VALU_DEP_2)
	v_dual_mov_b32 v10, v12 :: v_dual_mov_b32 v5, v23
	v_dual_mov_b32 v22, v23 :: v_dual_mov_b32 v11, v13
.LBB16_35:                              ;   in Loop: Header=BB16_4 Depth=1
	s_or_b32 exec_lo, exec_lo, s5
	ds_bpermute_b32 v12, v17, v10
	ds_bpermute_b32 v13, v17, v11
	s_waitcnt lgkmcnt(2)
	ds_bpermute_b32 v23, v17, v22
	s_mov_b32 s5, exec_lo
	s_waitcnt lgkmcnt(1)
	v_cmpx_ne_u64_e32 0, v[12:13]
	s_cbranch_execz .LBB16_39
; %bb.36:                               ;   in Loop: Header=BB16_4 Depth=1
	v_cmp_ne_u64_e32 vcc_lo, 0, v[10:11]
	s_waitcnt lgkmcnt(0)
	v_cmp_ngt_f32_e64 s4, v5, v23
	v_mov_b32_e32 v24, v23
	s_delay_alu instid0(VALU_DEP_2) | instskip(NEXT) | instid1(SALU_CYCLE_1)
	s_and_b32 s4, vcc_lo, s4
	s_and_saveexec_b32 s6, s4
; %bb.37:                               ;   in Loop: Header=BB16_4 Depth=1
	v_cmp_lt_i64_e32 vcc_lo, v[12:13], v[10:11]
	v_cmp_eq_f32_e64 s4, v5, v23
	v_dual_mov_b32 v23, v22 :: v_dual_mov_b32 v24, v5
	v_cndmask_b32_e32 v13, v11, v13, vcc_lo
	s_delay_alu instid0(VALU_DEP_3) | instskip(SKIP_1) | instid1(VALU_DEP_2)
	s_and_b32 vcc_lo, s4, vcc_lo
	v_cndmask_b32_e32 v12, v10, v12, vcc_lo
	v_cndmask_b32_e64 v13, v11, v13, s4
; %bb.38:                               ;   in Loop: Header=BB16_4 Depth=1
	s_or_b32 exec_lo, exec_lo, s6
	s_delay_alu instid0(VALU_DEP_2) | instskip(NEXT) | instid1(VALU_DEP_2)
	v_mov_b32_e32 v10, v12
	v_dual_mov_b32 v22, v23 :: v_dual_mov_b32 v11, v13
	v_mov_b32_e32 v5, v24
.LBB16_39:                              ;   in Loop: Header=BB16_4 Depth=1
	s_or_b32 exec_lo, exec_lo, s5
	ds_bpermute_b32 v12, v18, v10
	ds_bpermute_b32 v13, v18, v11
	s_waitcnt lgkmcnt(2)
	ds_bpermute_b32 v23, v18, v22
	s_mov_b32 s5, exec_lo
	s_waitcnt lgkmcnt(1)
	v_cmpx_ne_u64_e32 0, v[12:13]
	s_cbranch_execz .LBB16_43
; %bb.40:                               ;   in Loop: Header=BB16_4 Depth=1
	v_cmp_ne_u64_e32 vcc_lo, 0, v[10:11]
	s_waitcnt lgkmcnt(0)
	v_cmp_ngt_f32_e64 s4, v5, v23
	v_mov_b32_e32 v24, v23
	s_delay_alu instid0(VALU_DEP_2) | instskip(NEXT) | instid1(SALU_CYCLE_1)
	s_and_b32 s4, vcc_lo, s4
	s_and_saveexec_b32 s6, s4
; %bb.41:                               ;   in Loop: Header=BB16_4 Depth=1
	v_cmp_lt_i64_e32 vcc_lo, v[12:13], v[10:11]
	v_cmp_eq_f32_e64 s4, v5, v23
	v_dual_mov_b32 v23, v22 :: v_dual_mov_b32 v24, v5
	v_cndmask_b32_e32 v13, v11, v13, vcc_lo
	s_delay_alu instid0(VALU_DEP_3) | instskip(SKIP_1) | instid1(VALU_DEP_2)
	s_and_b32 vcc_lo, s4, vcc_lo
	v_cndmask_b32_e32 v12, v10, v12, vcc_lo
	v_cndmask_b32_e64 v13, v11, v13, s4
; %bb.42:                               ;   in Loop: Header=BB16_4 Depth=1
	s_or_b32 exec_lo, exec_lo, s6
	s_delay_alu instid0(VALU_DEP_2) | instskip(NEXT) | instid1(VALU_DEP_2)
	v_mov_b32_e32 v10, v12
	v_dual_mov_b32 v22, v23 :: v_dual_mov_b32 v11, v13
	v_mov_b32_e32 v5, v24
.LBB16_43:                              ;   in Loop: Header=BB16_4 Depth=1
	;; [unrolled: 33-line block ×3, first 2 shown]
	s_or_b32 exec_lo, exec_lo, s5
	ds_bpermute_b32 v12, v20, v10
	ds_bpermute_b32 v13, v20, v11
	;; [unrolled: 1-line block ×3, first 2 shown]
	s_mov_b32 s18, exec_lo
	s_waitcnt lgkmcnt(1)
	v_cmpx_ne_u64_e32 0, v[12:13]
	s_cbranch_execz .LBB16_49
; %bb.48:                               ;   in Loop: Header=BB16_4 Depth=1
	v_cmp_lt_i64_e32 vcc_lo, v[12:13], v[10:11]
	s_waitcnt lgkmcnt(0)
	v_cmp_eq_f32_e64 s4, v5, v22
	v_cmp_eq_u64_e64 s5, 0, v[10:11]
	v_cmp_gt_f32_e64 s6, v5, v22
	s_delay_alu instid0(VALU_DEP_3) | instskip(NEXT) | instid1(VALU_DEP_1)
	s_and_b32 vcc_lo, s4, vcc_lo
	s_or_b32 s4, s5, s6
	v_cndmask_b32_e32 v11, v11, v13, vcc_lo
	s_or_b32 vcc_lo, s4, vcc_lo
	v_cndmask_b32_e64 v5, v5, v22, s4
	v_cndmask_b32_e32 v10, v10, v12, vcc_lo
	s_delay_alu instid0(VALU_DEP_3)
	v_cndmask_b32_e64 v11, v11, v13, s4
.LBB16_49:                              ;   in Loop: Header=BB16_4 Depth=1
	s_or_b32 exec_lo, exec_lo, s18
	s_waitcnt lgkmcnt(0)
	v_mov_b32_e32 v22, v5
.LBB16_50:                              ;   in Loop: Header=BB16_4 Depth=1
	s_or_b32 exec_lo, exec_lo, s15
	s_waitcnt lgkmcnt(1)
	v_cmp_ne_u64_e32 vcc_lo, 0, v[10:11]
	s_and_b32 s4, s9, vcc_lo
	s_delay_alu instid0(SALU_CYCLE_1)
	s_and_saveexec_b32 s5, s4
	s_cbranch_execz .LBB16_3
; %bb.51:                               ;   in Loop: Header=BB16_4 Depth=1
	v_cmp_ne_u64_e32 vcc_lo, 0, v[1:2]
	s_waitcnt lgkmcnt(0)
	v_cmp_nlt_f32_e64 s4, v22, v3
	v_mov_b32_e32 v5, v22
	s_delay_alu instid0(VALU_DEP_2) | instskip(NEXT) | instid1(SALU_CYCLE_1)
	s_and_b32 s4, vcc_lo, s4
	s_and_saveexec_b32 s6, s4
	s_cbranch_execz .LBB16_2
; %bb.52:                               ;   in Loop: Header=BB16_4 Depth=1
	v_cmp_lt_i64_e32 vcc_lo, v[10:11], v[1:2]
	v_cmp_eq_f32_e64 s4, v3, v22
	v_cndmask_b32_e32 v5, v2, v11, vcc_lo
	s_delay_alu instid0(VALU_DEP_2) | instskip(SKIP_1) | instid1(VALU_DEP_2)
	s_and_b32 vcc_lo, s4, vcc_lo
	v_cndmask_b32_e32 v10, v1, v10, vcc_lo
	v_cndmask_b32_e64 v11, v2, v5, s4
	v_mov_b32_e32 v5, v3
	s_branch .LBB16_2
.LBB16_53:
	v_mov_b32_e32 v1, 0
	v_mov_b32_e32 v2, 0
.LBB16_54:
	s_mov_b32 s15, 0
	s_mov_b32 s2, exec_lo
	v_cmpx_eq_u32_e32 0, v0
	s_cbranch_execz .LBB16_56
; %bb.55:
	s_clause 0x1
	s_load_b32 s2, s[0:1], 0x30
	s_load_b64 s[0:1], s[0:1], 0x28
	v_mov_b32_e32 v0, 0
	s_waitcnt lgkmcnt(0)
	s_mul_hi_u32 s3, s2, s8
	s_mul_i32 s2, s2, s8
	s_delay_alu instid0(SALU_CYCLE_1) | instskip(NEXT) | instid1(SALU_CYCLE_1)
	s_lshl_b64 s[2:3], s[2:3], 4
	s_add_u32 s2, s0, s2
	s_addc_u32 s3, s1, s3
	s_lshl_b64 s[0:1], s[14:15], 4
	s_delay_alu instid0(SALU_CYCLE_1)
	s_add_u32 s0, s2, s0
	s_addc_u32 s1, s3, s1
	global_store_b96 v0, v[1:3], s[0:1]
.LBB16_56:
	s_nop 0
	s_sendmsg sendmsg(MSG_DEALLOC_VGPRS)
	s_endpgm
	.section	.rodata,"a",@progbits
	.p2align	6, 0x0
	.amdhsa_kernel _ZL35rocblas_iamax_iamin_kernel_part1_64ILi1024E26rocblas_fetch_amax_amin_64IfE22rocblas_reduce_amin_64PKPKf24rocblas_index_64_value_tIfEEvlT2_lllPT3_
		.amdhsa_group_segment_fixed_size 512
		.amdhsa_private_segment_fixed_size 0
		.amdhsa_kernarg_size 304
		.amdhsa_user_sgpr_count 14
		.amdhsa_user_sgpr_dispatch_ptr 0
		.amdhsa_user_sgpr_queue_ptr 0
		.amdhsa_user_sgpr_kernarg_segment_ptr 1
		.amdhsa_user_sgpr_dispatch_id 0
		.amdhsa_user_sgpr_private_segment_size 0
		.amdhsa_wavefront_size32 1
		.amdhsa_uses_dynamic_stack 0
		.amdhsa_enable_private_segment 0
		.amdhsa_system_sgpr_workgroup_id_x 1
		.amdhsa_system_sgpr_workgroup_id_y 0
		.amdhsa_system_sgpr_workgroup_id_z 1
		.amdhsa_system_sgpr_workgroup_info 0
		.amdhsa_system_vgpr_workitem_id 0
		.amdhsa_next_free_vgpr 25
		.amdhsa_next_free_sgpr 24
		.amdhsa_reserve_vcc 1
		.amdhsa_float_round_mode_32 0
		.amdhsa_float_round_mode_16_64 0
		.amdhsa_float_denorm_mode_32 3
		.amdhsa_float_denorm_mode_16_64 3
		.amdhsa_dx10_clamp 1
		.amdhsa_ieee_mode 1
		.amdhsa_fp16_overflow 0
		.amdhsa_workgroup_processor_mode 1
		.amdhsa_memory_ordered 1
		.amdhsa_forward_progress 0
		.amdhsa_shared_vgpr_count 0
		.amdhsa_exception_fp_ieee_invalid_op 0
		.amdhsa_exception_fp_denorm_src 0
		.amdhsa_exception_fp_ieee_div_zero 0
		.amdhsa_exception_fp_ieee_overflow 0
		.amdhsa_exception_fp_ieee_underflow 0
		.amdhsa_exception_fp_ieee_inexact 0
		.amdhsa_exception_int_div_zero 0
	.end_amdhsa_kernel
	.section	.text._ZL35rocblas_iamax_iamin_kernel_part1_64ILi1024E26rocblas_fetch_amax_amin_64IfE22rocblas_reduce_amin_64PKPKf24rocblas_index_64_value_tIfEEvlT2_lllPT3_,"axG",@progbits,_ZL35rocblas_iamax_iamin_kernel_part1_64ILi1024E26rocblas_fetch_amax_amin_64IfE22rocblas_reduce_amin_64PKPKf24rocblas_index_64_value_tIfEEvlT2_lllPT3_,comdat
.Lfunc_end16:
	.size	_ZL35rocblas_iamax_iamin_kernel_part1_64ILi1024E26rocblas_fetch_amax_amin_64IfE22rocblas_reduce_amin_64PKPKf24rocblas_index_64_value_tIfEEvlT2_lllPT3_, .Lfunc_end16-_ZL35rocblas_iamax_iamin_kernel_part1_64ILi1024E26rocblas_fetch_amax_amin_64IfE22rocblas_reduce_amin_64PKPKf24rocblas_index_64_value_tIfEEvlT2_lllPT3_
                                        ; -- End function
	.section	.AMDGPU.csdata,"",@progbits
; Kernel info:
; codeLenInByte = 2288
; NumSgprs: 26
; NumVgprs: 25
; ScratchSize: 0
; MemoryBound: 0
; FloatMode: 240
; IeeeMode: 1
; LDSByteSize: 512 bytes/workgroup (compile time only)
; SGPRBlocks: 3
; VGPRBlocks: 3
; NumSGPRsForWavesPerEU: 26
; NumVGPRsForWavesPerEU: 25
; Occupancy: 16
; WaveLimiterHint : 0
; COMPUTE_PGM_RSRC2:SCRATCH_EN: 0
; COMPUTE_PGM_RSRC2:USER_SGPR: 14
; COMPUTE_PGM_RSRC2:TRAP_HANDLER: 0
; COMPUTE_PGM_RSRC2:TGID_X_EN: 1
; COMPUTE_PGM_RSRC2:TGID_Y_EN: 0
; COMPUTE_PGM_RSRC2:TGID_Z_EN: 1
; COMPUTE_PGM_RSRC2:TIDIG_COMP_CNT: 0
	.section	.text._ZL35rocblas_iamax_iamin_kernel_part1_64ILi1024E26rocblas_fetch_amax_amin_64IdE22rocblas_reduce_amin_64PKPKd24rocblas_index_64_value_tIdEEvlT2_lllPT3_,"axG",@progbits,_ZL35rocblas_iamax_iamin_kernel_part1_64ILi1024E26rocblas_fetch_amax_amin_64IdE22rocblas_reduce_amin_64PKPKd24rocblas_index_64_value_tIdEEvlT2_lllPT3_,comdat
	.globl	_ZL35rocblas_iamax_iamin_kernel_part1_64ILi1024E26rocblas_fetch_amax_amin_64IdE22rocblas_reduce_amin_64PKPKd24rocblas_index_64_value_tIdEEvlT2_lllPT3_ ; -- Begin function _ZL35rocblas_iamax_iamin_kernel_part1_64ILi1024E26rocblas_fetch_amax_amin_64IdE22rocblas_reduce_amin_64PKPKd24rocblas_index_64_value_tIdEEvlT2_lllPT3_
	.p2align	8
	.type	_ZL35rocblas_iamax_iamin_kernel_part1_64ILi1024E26rocblas_fetch_amax_amin_64IdE22rocblas_reduce_amin_64PKPKd24rocblas_index_64_value_tIdEEvlT2_lllPT3_,@function
_ZL35rocblas_iamax_iamin_kernel_part1_64ILi1024E26rocblas_fetch_amax_amin_64IdE22rocblas_reduce_amin_64PKPKd24rocblas_index_64_value_tIdEEvlT2_lllPT3_: ; @_ZL35rocblas_iamax_iamin_kernel_part1_64ILi1024E26rocblas_fetch_amax_amin_64IdE22rocblas_reduce_amin_64PKPKd24rocblas_index_64_value_tIdEEvlT2_lllPT3_
; %bb.0:
	s_load_b256 s[16:23], s[0:1], 0x0
	s_mov_b32 s8, s15
	s_mov_b32 s9, 0
	s_waitcnt lgkmcnt(0)
	v_cmp_lt_i64_e64 s2, s[16:17], 1
	s_delay_alu instid0(VALU_DEP_1)
	s_and_b32 vcc_lo, exec_lo, s2
	s_cbranch_vccnz .LBB17_53
; %bb.1:
	v_mbcnt_lo_u32_b32 v5, -1, 0
	v_lshl_or_b32 v24, s14, 10, v0
	s_lshl_b64 s[2:3], s[8:9], 3
	s_load_b32 s6, s[0:1], 0x30
	s_add_u32 s4, s18, s2
	v_cmp_gt_u32_e32 vcc_lo, 16, v5
	s_addc_u32 s5, s19, s3
	v_and_b32_e32 v6, 31, v0
	s_load_b64 s[4:5], s[4:5], 0x0
	s_lshl_b64 s[10:11], s[20:21], 3
	v_cndmask_b32_e64 v1, 0, 1, vcc_lo
	v_cmp_gt_u32_e32 vcc_lo, 24, v5
	v_cmp_gt_u32_e64 s2, 32, v0
	s_mov_b64 s[12:13], 0
	v_mov_b32_e32 v15, 0
	v_dual_mov_b32 v16, 0 :: v_dual_lshlrev_b32 v3, 4, v1
	v_cndmask_b32_e64 v4, 0, 1, vcc_lo
	v_cmp_gt_u32_e32 vcc_lo, 28, v5
	v_mad_u64_u32 v[1:2], null, s22, v24, 0
	s_delay_alu instid0(VALU_DEP_4) | instskip(NEXT) | instid1(VALU_DEP_4)
	v_add_lshl_u32 v25, v3, v5, 2
	v_lshlrev_b32_e32 v9, 3, v4
	v_cndmask_b32_e64 v7, 0, 1, vcc_lo
	v_cmp_gt_u32_e32 vcc_lo, 30, v5
	s_waitcnt lgkmcnt(0)
	s_lshl_b32 s7, s6, 10
	v_mad_u64_u32 v[3:4], null, s23, v24, v[2:3]
	v_cndmask_b32_e64 v8, 0, 1, vcc_lo
	v_lshlrev_b32_e32 v7, 2, v7
	v_cmp_ne_u32_e32 vcc_lo, 31, v5
	v_lshrrev_b32_e32 v2, 1, v0
	s_add_u32 s4, s4, s10
	v_lshlrev_b32_e32 v8, 1, v8
	v_add_lshl_u32 v27, v7, v5, 2
	v_add_co_ci_u32_e32 v10, vcc_lo, 0, v5, vcc_lo
	v_add_lshl_u32 v26, v9, v5, 2
	s_delay_alu instid0(VALU_DEP_4)
	v_add_lshl_u32 v28, v8, v5, 2
	v_and_b32_e32 v30, 0x1f0, v2
	v_dual_mov_b32 v2, v3 :: v_dual_mov_b32 v5, 0
	v_lshlrev_b32_e32 v23, 4, v6
	s_addc_u32 s5, s5, s11
	v_cmp_ne_u32_e32 vcc_lo, 0, v0
	s_delay_alu instid0(VALU_DEP_3) | instskip(SKIP_4) | instid1(VALU_DEP_3)
	v_lshlrev_b64 v[1:2], 3, v[1:2]
	s_mul_i32 s6, s23, s7
	s_mul_hi_u32 s9, s22, s7
	v_lshlrev_b32_e32 v29, 2, v10
	v_cmp_eq_u32_e64 s3, 0, v6
                                        ; implicit-def: $vgpr9_vgpr10
	v_add_co_u32 v17, s4, s4, v1
	s_delay_alu instid0(VALU_DEP_1)
	v_add_co_ci_u32_e64 v18, s4, s5, v2, s4
	v_dual_mov_b32 v1, v15 :: v_dual_mov_b32 v2, v16
	s_add_i32 s5, s9, s6
	s_mul_i32 s4, s22, s7
	s_xor_b32 s9, vcc_lo, -1
	s_lshl_b64 s[10:11], s[4:5], 3
	s_branch .LBB17_4
.LBB17_2:                               ;   in Loop: Header=BB17_4 Depth=1
	s_or_b32 exec_lo, exec_lo, s6
	s_delay_alu instid0(VALU_DEP_1)
	v_dual_mov_b32 v1, v7 :: v_dual_mov_b32 v2, v8
	v_dual_mov_b32 v3, v11 :: v_dual_mov_b32 v4, v12
.LBB17_3:                               ;   in Loop: Header=BB17_4 Depth=1
	s_or_b32 exec_lo, exec_lo, s5
	s_add_u32 s12, s12, s7
	s_addc_u32 s13, s13, 0
	v_add_co_u32 v17, vcc_lo, v17, s10
	v_cmp_ge_i64_e64 s4, s[12:13], s[16:17]
	v_add_co_ci_u32_e32 v18, vcc_lo, s11, v18, vcc_lo
	s_delay_alu instid0(VALU_DEP_2)
	s_and_b32 vcc_lo, exec_lo, s4
	s_cbranch_vccnz .LBB17_54
.LBB17_4:                               ; =>This Inner Loop Header: Depth=1
	v_add_co_u32 v6, s4, v24, s12
	s_delay_alu instid0(VALU_DEP_1) | instskip(SKIP_2) | instid1(VALU_DEP_2)
	v_add_co_ci_u32_e64 v7, null, 0, s13, s4
	v_dual_mov_b32 v11, v15 :: v_dual_mov_b32 v12, v16
	s_mov_b32 s5, exec_lo
	v_cmpx_gt_i64_e64 s[16:17], v[6:7]
	s_cbranch_execz .LBB17_6
; %bb.5:                                ;   in Loop: Header=BB17_4 Depth=1
	global_load_b64 v[8:9], v[17:18], off
	v_add_co_u32 v11, s4, v6, 1
	s_delay_alu instid0(VALU_DEP_1) | instskip(SKIP_3) | instid1(VALU_DEP_1)
	v_add_co_ci_u32_e64 v12, s4, 0, v7, s4
	s_waitcnt vmcnt(0)
	v_cmp_gt_f64_e32 vcc_lo, 0, v[8:9]
	v_xor_b32_e32 v10, 0x80000000, v9
	v_dual_cndmask_b32 v10, v9, v10 :: v_dual_cndmask_b32 v9, v8, v8
.LBB17_6:                               ;   in Loop: Header=BB17_4 Depth=1
	s_or_b32 exec_lo, exec_lo, s5
	s_and_saveexec_b32 s4, s2
	s_cbranch_execz .LBB17_8
; %bb.7:                                ;   in Loop: Header=BB17_4 Depth=1
	v_mov_b32_e32 v6, v5
	v_mov_b32_e32 v7, v5
	v_mov_b32_e32 v8, v5
	ds_store_b128 v23, v[5:8]
.LBB17_8:                               ;   in Loop: Header=BB17_4 Depth=1
	s_or_b32 exec_lo, exec_lo, s4
	ds_bpermute_b32 v6, v25, v11
	ds_bpermute_b32 v7, v25, v12
	;; [unrolled: 1-line block ×4, first 2 shown]
	v_dual_mov_b32 v14, v10 :: v_dual_mov_b32 v13, v9
	s_mov_b32 s5, exec_lo
	s_waitcnt lgkmcnt(0)
	s_barrier
	buffer_gl0_inv
	v_cmpx_ne_u64_e32 0, v[6:7]
	s_cbranch_execz .LBB17_12
; %bb.9:                                ;   in Loop: Header=BB17_4 Depth=1
	v_cmp_ngt_f64_e32 vcc_lo, v[9:10], v[19:20]
	v_cmp_ne_u64_e64 s4, 0, v[11:12]
	v_dual_mov_b32 v13, v19 :: v_dual_mov_b32 v14, v20
	s_delay_alu instid0(VALU_DEP_2) | instskip(NEXT) | instid1(SALU_CYCLE_1)
	s_and_b32 s4, s4, vcc_lo
	s_and_saveexec_b32 s6, s4
; %bb.10:                               ;   in Loop: Header=BB17_4 Depth=1
	v_cmp_eq_f64_e64 s4, v[9:10], v[19:20]
	v_cmp_lt_i64_e32 vcc_lo, v[6:7], v[11:12]
	v_dual_mov_b32 v19, v9 :: v_dual_mov_b32 v20, v10
	v_dual_mov_b32 v14, v10 :: v_dual_cndmask_b32 v7, v12, v7
	s_delay_alu instid0(VALU_DEP_4) | instskip(SKIP_1) | instid1(VALU_DEP_2)
	s_and_b32 vcc_lo, s4, vcc_lo
	v_dual_mov_b32 v13, v9 :: v_dual_cndmask_b32 v6, v11, v6
	v_cndmask_b32_e64 v7, v12, v7, s4
; %bb.11:                               ;   in Loop: Header=BB17_4 Depth=1
	s_or_b32 exec_lo, exec_lo, s6
	v_dual_mov_b32 v10, v20 :: v_dual_mov_b32 v9, v19
	s_delay_alu instid0(VALU_DEP_2)
	v_dual_mov_b32 v12, v7 :: v_dual_mov_b32 v11, v6
.LBB17_12:                              ;   in Loop: Header=BB17_4 Depth=1
	s_or_b32 exec_lo, exec_lo, s5
	ds_bpermute_b32 v6, v26, v11
	ds_bpermute_b32 v7, v26, v12
	ds_bpermute_b32 v19, v26, v9
	ds_bpermute_b32 v20, v26, v10
	s_mov_b32 s5, exec_lo
	s_waitcnt lgkmcnt(2)
	v_cmpx_ne_u64_e32 0, v[6:7]
	s_cbranch_execz .LBB17_16
; %bb.13:                               ;   in Loop: Header=BB17_4 Depth=1
	s_waitcnt lgkmcnt(0)
	v_cmp_ngt_f64_e32 vcc_lo, v[13:14], v[19:20]
	v_cmp_ne_u64_e64 s4, 0, v[11:12]
	v_dual_mov_b32 v22, v20 :: v_dual_mov_b32 v21, v19
	s_delay_alu instid0(VALU_DEP_2) | instskip(NEXT) | instid1(SALU_CYCLE_1)
	s_and_b32 s4, s4, vcc_lo
	s_and_saveexec_b32 s6, s4
; %bb.14:                               ;   in Loop: Header=BB17_4 Depth=1
	v_cmp_eq_f64_e64 s4, v[13:14], v[19:20]
	v_cmp_lt_i64_e32 vcc_lo, v[6:7], v[11:12]
	v_dual_mov_b32 v19, v9 :: v_dual_mov_b32 v20, v10
	v_dual_mov_b32 v22, v14 :: v_dual_cndmask_b32 v7, v12, v7
	s_delay_alu instid0(VALU_DEP_4) | instskip(SKIP_1) | instid1(VALU_DEP_2)
	s_and_b32 vcc_lo, s4, vcc_lo
	v_dual_mov_b32 v21, v13 :: v_dual_cndmask_b32 v6, v11, v6
	v_cndmask_b32_e64 v7, v12, v7, s4
; %bb.15:                               ;   in Loop: Header=BB17_4 Depth=1
	s_or_b32 exec_lo, exec_lo, s6
	v_dual_mov_b32 v10, v20 :: v_dual_mov_b32 v9, v19
	s_delay_alu instid0(VALU_DEP_2)
	v_dual_mov_b32 v12, v7 :: v_dual_mov_b32 v11, v6
	v_dual_mov_b32 v13, v21 :: v_dual_mov_b32 v14, v22
.LBB17_16:                              ;   in Loop: Header=BB17_4 Depth=1
	s_or_b32 exec_lo, exec_lo, s5
	ds_bpermute_b32 v6, v27, v11
	ds_bpermute_b32 v7, v27, v12
	s_waitcnt lgkmcnt(3)
	ds_bpermute_b32 v19, v27, v9
	s_waitcnt lgkmcnt(3)
	ds_bpermute_b32 v20, v27, v10
	s_mov_b32 s5, exec_lo
	s_waitcnt lgkmcnt(2)
	v_cmpx_ne_u64_e32 0, v[6:7]
	s_cbranch_execz .LBB17_20
; %bb.17:                               ;   in Loop: Header=BB17_4 Depth=1
	s_waitcnt lgkmcnt(0)
	v_cmp_ngt_f64_e32 vcc_lo, v[13:14], v[19:20]
	v_cmp_ne_u64_e64 s4, 0, v[11:12]
	v_dual_mov_b32 v22, v20 :: v_dual_mov_b32 v21, v19
	s_delay_alu instid0(VALU_DEP_2) | instskip(NEXT) | instid1(SALU_CYCLE_1)
	s_and_b32 s4, s4, vcc_lo
	s_and_saveexec_b32 s6, s4
; %bb.18:                               ;   in Loop: Header=BB17_4 Depth=1
	v_cmp_eq_f64_e64 s4, v[13:14], v[19:20]
	v_cmp_lt_i64_e32 vcc_lo, v[6:7], v[11:12]
	v_dual_mov_b32 v19, v9 :: v_dual_mov_b32 v20, v10
	v_dual_mov_b32 v22, v14 :: v_dual_cndmask_b32 v7, v12, v7
	s_delay_alu instid0(VALU_DEP_4) | instskip(SKIP_1) | instid1(VALU_DEP_2)
	s_and_b32 vcc_lo, s4, vcc_lo
	v_dual_mov_b32 v21, v13 :: v_dual_cndmask_b32 v6, v11, v6
	v_cndmask_b32_e64 v7, v12, v7, s4
; %bb.19:                               ;   in Loop: Header=BB17_4 Depth=1
	s_or_b32 exec_lo, exec_lo, s6
	v_dual_mov_b32 v10, v20 :: v_dual_mov_b32 v9, v19
	s_delay_alu instid0(VALU_DEP_2)
	v_dual_mov_b32 v12, v7 :: v_dual_mov_b32 v11, v6
	v_dual_mov_b32 v13, v21 :: v_dual_mov_b32 v14, v22
.LBB17_20:                              ;   in Loop: Header=BB17_4 Depth=1
	s_or_b32 exec_lo, exec_lo, s5
	ds_bpermute_b32 v6, v28, v11
	ds_bpermute_b32 v7, v28, v12
	s_waitcnt lgkmcnt(3)
	ds_bpermute_b32 v19, v28, v9
	s_waitcnt lgkmcnt(3)
	ds_bpermute_b32 v20, v28, v10
	s_mov_b32 s5, exec_lo
	s_waitcnt lgkmcnt(2)
	v_cmpx_ne_u64_e32 0, v[6:7]
	s_cbranch_execz .LBB17_24
; %bb.21:                               ;   in Loop: Header=BB17_4 Depth=1
	s_waitcnt lgkmcnt(0)
	v_cmp_ngt_f64_e32 vcc_lo, v[13:14], v[19:20]
	v_cmp_ne_u64_e64 s4, 0, v[11:12]
	v_dual_mov_b32 v22, v20 :: v_dual_mov_b32 v21, v19
	s_delay_alu instid0(VALU_DEP_2) | instskip(NEXT) | instid1(SALU_CYCLE_1)
	s_and_b32 s4, s4, vcc_lo
	s_and_saveexec_b32 s6, s4
; %bb.22:                               ;   in Loop: Header=BB17_4 Depth=1
	v_cmp_eq_f64_e64 s4, v[13:14], v[19:20]
	v_cmp_lt_i64_e32 vcc_lo, v[6:7], v[11:12]
	v_dual_mov_b32 v19, v9 :: v_dual_mov_b32 v20, v10
	v_dual_mov_b32 v22, v14 :: v_dual_cndmask_b32 v7, v12, v7
	s_delay_alu instid0(VALU_DEP_4) | instskip(SKIP_1) | instid1(VALU_DEP_2)
	s_and_b32 vcc_lo, s4, vcc_lo
	v_dual_mov_b32 v21, v13 :: v_dual_cndmask_b32 v6, v11, v6
	v_cndmask_b32_e64 v7, v12, v7, s4
; %bb.23:                               ;   in Loop: Header=BB17_4 Depth=1
	s_or_b32 exec_lo, exec_lo, s6
	v_dual_mov_b32 v10, v20 :: v_dual_mov_b32 v9, v19
	s_delay_alu instid0(VALU_DEP_2)
	v_dual_mov_b32 v12, v7 :: v_dual_mov_b32 v11, v6
	v_dual_mov_b32 v13, v21 :: v_dual_mov_b32 v14, v22
.LBB17_24:                              ;   in Loop: Header=BB17_4 Depth=1
	s_or_b32 exec_lo, exec_lo, s5
	s_waitcnt lgkmcnt(1)
	ds_bpermute_b32 v19, v29, v11
	s_waitcnt lgkmcnt(1)
	ds_bpermute_b32 v20, v29, v12
	ds_bpermute_b32 v6, v29, v9
	;; [unrolled: 1-line block ×3, first 2 shown]
	s_mov_b32 s15, exec_lo
	s_waitcnt lgkmcnt(2)
	v_cmpx_ne_u64_e32 0, v[19:20]
	s_cbranch_execz .LBB17_26
; %bb.25:                               ;   in Loop: Header=BB17_4 Depth=1
	s_waitcnt lgkmcnt(0)
	v_cmp_eq_f64_e32 vcc_lo, v[13:14], v[6:7]
	v_cmp_gt_f64_e64 s4, v[13:14], v[6:7]
	v_cmp_lt_i64_e64 s5, v[19:20], v[11:12]
	v_cmp_eq_u64_e64 s6, 0, v[11:12]
	s_delay_alu instid0(VALU_DEP_2) | instskip(NEXT) | instid1(VALU_DEP_1)
	s_and_b32 vcc_lo, vcc_lo, s5
	s_or_b32 s4, s6, s4
	v_cndmask_b32_e32 v8, v12, v20, vcc_lo
	s_or_b32 vcc_lo, s4, vcc_lo
	v_cndmask_b32_e64 v14, v14, v7, s4
	v_cndmask_b32_e32 v11, v11, v19, vcc_lo
	v_cndmask_b32_e64 v13, v13, v6, s4
	v_cndmask_b32_e64 v12, v8, v20, s4
.LBB17_26:                              ;   in Loop: Header=BB17_4 Depth=1
	s_or_b32 exec_lo, exec_lo, s15
	s_and_saveexec_b32 s4, s3
	s_cbranch_execz .LBB17_28
; %bb.27:                               ;   in Loop: Header=BB17_4 Depth=1
	ds_store_b128 v30, v[11:14]
.LBB17_28:                              ;   in Loop: Header=BB17_4 Depth=1
	s_or_b32 exec_lo, exec_lo, s4
	s_waitcnt lgkmcnt(0)
	v_mov_b32_e32 v7, 0
	v_dual_mov_b32 v8, 0 :: v_dual_mov_b32 v9, 0
	v_mov_b32_e32 v10, 0
	s_barrier
	buffer_gl0_inv
	s_and_saveexec_b32 s4, s2
	s_cbranch_execz .LBB17_30
; %bb.29:                               ;   in Loop: Header=BB17_4 Depth=1
	ds_load_b128 v[7:10], v23
.LBB17_30:                              ;   in Loop: Header=BB17_4 Depth=1
	s_or_b32 exec_lo, exec_lo, s4
	s_and_saveexec_b32 s15, s2
	s_cbranch_execz .LBB17_50
; %bb.31:                               ;   in Loop: Header=BB17_4 Depth=1
	s_waitcnt lgkmcnt(0)
	ds_bpermute_b32 v13, v25, v7
	ds_bpermute_b32 v14, v25, v8
	;; [unrolled: 1-line block ×4, first 2 shown]
	v_dual_mov_b32 v12, v10 :: v_dual_mov_b32 v11, v9
	s_mov_b32 s5, exec_lo
	s_waitcnt lgkmcnt(2)
	v_cmpx_ne_u64_e32 0, v[13:14]
	s_cbranch_execz .LBB17_35
; %bb.32:                               ;   in Loop: Header=BB17_4 Depth=1
	s_waitcnt lgkmcnt(0)
	v_cmp_ngt_f64_e32 vcc_lo, v[9:10], v[19:20]
	v_cmp_ne_u64_e64 s4, 0, v[7:8]
	v_dual_mov_b32 v11, v19 :: v_dual_mov_b32 v12, v20
	s_delay_alu instid0(VALU_DEP_2) | instskip(NEXT) | instid1(SALU_CYCLE_1)
	s_and_b32 s4, s4, vcc_lo
	s_and_saveexec_b32 s6, s4
; %bb.33:                               ;   in Loop: Header=BB17_4 Depth=1
	v_cmp_eq_f64_e64 s4, v[9:10], v[19:20]
	v_cmp_lt_i64_e32 vcc_lo, v[13:14], v[7:8]
	v_dual_mov_b32 v12, v10 :: v_dual_mov_b32 v19, v9
	v_dual_mov_b32 v11, v9 :: v_dual_mov_b32 v20, v10
	v_cndmask_b32_e32 v6, v8, v14, vcc_lo
	s_and_b32 vcc_lo, s4, vcc_lo
	s_delay_alu instid0(VALU_DEP_1)
	v_cndmask_b32_e64 v14, v8, v6, s4
	v_cndmask_b32_e32 v13, v7, v13, vcc_lo
; %bb.34:                               ;   in Loop: Header=BB17_4 Depth=1
	s_or_b32 exec_lo, exec_lo, s6
	v_dual_mov_b32 v10, v20 :: v_dual_mov_b32 v9, v19
	s_delay_alu instid0(VALU_DEP_2)
	v_dual_mov_b32 v7, v13 :: v_dual_mov_b32 v8, v14
.LBB17_35:                              ;   in Loop: Header=BB17_4 Depth=1
	s_or_b32 exec_lo, exec_lo, s5
	ds_bpermute_b32 v13, v26, v7
	ds_bpermute_b32 v14, v26, v8
	s_waitcnt lgkmcnt(3)
	ds_bpermute_b32 v19, v26, v9
	s_waitcnt lgkmcnt(3)
	ds_bpermute_b32 v20, v26, v10
	s_mov_b32 s5, exec_lo
	s_waitcnt lgkmcnt(2)
	v_cmpx_ne_u64_e32 0, v[13:14]
	s_cbranch_execz .LBB17_39
; %bb.36:                               ;   in Loop: Header=BB17_4 Depth=1
	s_waitcnt lgkmcnt(0)
	v_cmp_ngt_f64_e32 vcc_lo, v[11:12], v[19:20]
	v_cmp_ne_u64_e64 s4, 0, v[7:8]
	v_dual_mov_b32 v22, v20 :: v_dual_mov_b32 v21, v19
	s_delay_alu instid0(VALU_DEP_2) | instskip(NEXT) | instid1(SALU_CYCLE_1)
	s_and_b32 s4, s4, vcc_lo
	s_and_saveexec_b32 s6, s4
; %bb.37:                               ;   in Loop: Header=BB17_4 Depth=1
	v_cmp_eq_f64_e64 s4, v[11:12], v[19:20]
	v_cmp_lt_i64_e32 vcc_lo, v[13:14], v[7:8]
	v_dual_mov_b32 v22, v12 :: v_dual_mov_b32 v19, v9
	v_dual_mov_b32 v21, v11 :: v_dual_mov_b32 v20, v10
	v_cndmask_b32_e32 v6, v8, v14, vcc_lo
	s_and_b32 vcc_lo, s4, vcc_lo
	s_delay_alu instid0(VALU_DEP_1)
	v_cndmask_b32_e64 v14, v8, v6, s4
	v_cndmask_b32_e32 v13, v7, v13, vcc_lo
; %bb.38:                               ;   in Loop: Header=BB17_4 Depth=1
	s_or_b32 exec_lo, exec_lo, s6
	v_dual_mov_b32 v10, v20 :: v_dual_mov_b32 v9, v19
	s_delay_alu instid0(VALU_DEP_2)
	v_dual_mov_b32 v7, v13 :: v_dual_mov_b32 v8, v14
	v_dual_mov_b32 v11, v21 :: v_dual_mov_b32 v12, v22
.LBB17_39:                              ;   in Loop: Header=BB17_4 Depth=1
	s_or_b32 exec_lo, exec_lo, s5
	ds_bpermute_b32 v13, v27, v7
	ds_bpermute_b32 v14, v27, v8
	s_waitcnt lgkmcnt(3)
	ds_bpermute_b32 v19, v27, v9
	s_waitcnt lgkmcnt(3)
	ds_bpermute_b32 v20, v27, v10
	s_mov_b32 s5, exec_lo
	s_waitcnt lgkmcnt(2)
	v_cmpx_ne_u64_e32 0, v[13:14]
	s_cbranch_execz .LBB17_43
; %bb.40:                               ;   in Loop: Header=BB17_4 Depth=1
	s_waitcnt lgkmcnt(0)
	v_cmp_ngt_f64_e32 vcc_lo, v[11:12], v[19:20]
	v_cmp_ne_u64_e64 s4, 0, v[7:8]
	v_dual_mov_b32 v22, v20 :: v_dual_mov_b32 v21, v19
	s_delay_alu instid0(VALU_DEP_2) | instskip(NEXT) | instid1(SALU_CYCLE_1)
	s_and_b32 s4, s4, vcc_lo
	s_and_saveexec_b32 s6, s4
; %bb.41:                               ;   in Loop: Header=BB17_4 Depth=1
	v_cmp_eq_f64_e64 s4, v[11:12], v[19:20]
	v_cmp_lt_i64_e32 vcc_lo, v[13:14], v[7:8]
	v_dual_mov_b32 v22, v12 :: v_dual_mov_b32 v19, v9
	v_dual_mov_b32 v21, v11 :: v_dual_mov_b32 v20, v10
	v_cndmask_b32_e32 v6, v8, v14, vcc_lo
	s_and_b32 vcc_lo, s4, vcc_lo
	s_delay_alu instid0(VALU_DEP_1)
	v_cndmask_b32_e64 v14, v8, v6, s4
	v_cndmask_b32_e32 v13, v7, v13, vcc_lo
; %bb.42:                               ;   in Loop: Header=BB17_4 Depth=1
	s_or_b32 exec_lo, exec_lo, s6
	v_dual_mov_b32 v10, v20 :: v_dual_mov_b32 v9, v19
	s_delay_alu instid0(VALU_DEP_2)
	v_dual_mov_b32 v7, v13 :: v_dual_mov_b32 v8, v14
	v_dual_mov_b32 v11, v21 :: v_dual_mov_b32 v12, v22
.LBB17_43:                              ;   in Loop: Header=BB17_4 Depth=1
	;; [unrolled: 36-line block ×3, first 2 shown]
	s_or_b32 exec_lo, exec_lo, s5
	ds_bpermute_b32 v13, v29, v7
	ds_bpermute_b32 v14, v29, v8
	ds_bpermute_b32 v9, v29, v9
	ds_bpermute_b32 v10, v29, v10
	s_mov_b32 s18, exec_lo
	s_waitcnt lgkmcnt(2)
	v_cmpx_ne_u64_e32 0, v[13:14]
	s_cbranch_execz .LBB17_49
; %bb.48:                               ;   in Loop: Header=BB17_4 Depth=1
	s_waitcnt lgkmcnt(0)
	v_cmp_eq_f64_e32 vcc_lo, v[11:12], v[9:10]
	v_cmp_gt_f64_e64 s4, v[11:12], v[9:10]
	v_cmp_lt_i64_e64 s5, v[13:14], v[7:8]
	v_cmp_eq_u64_e64 s6, 0, v[7:8]
	s_delay_alu instid0(VALU_DEP_2) | instskip(NEXT) | instid1(VALU_DEP_1)
	s_and_b32 vcc_lo, vcc_lo, s5
	s_or_b32 s4, s6, s4
	v_cndmask_b32_e32 v6, v8, v14, vcc_lo
	s_or_b32 vcc_lo, s4, vcc_lo
	v_cndmask_b32_e64 v12, v12, v10, s4
	v_cndmask_b32_e32 v7, v7, v13, vcc_lo
	v_cndmask_b32_e64 v11, v11, v9, s4
	v_cndmask_b32_e64 v8, v6, v14, s4
.LBB17_49:                              ;   in Loop: Header=BB17_4 Depth=1
	s_or_b32 exec_lo, exec_lo, s18
	s_waitcnt lgkmcnt(0)
	s_delay_alu instid0(VALU_DEP_2)
	v_dual_mov_b32 v9, v11 :: v_dual_mov_b32 v10, v12
.LBB17_50:                              ;   in Loop: Header=BB17_4 Depth=1
	s_or_b32 exec_lo, exec_lo, s15
	s_waitcnt lgkmcnt(0)
	v_cmp_ne_u64_e32 vcc_lo, 0, v[7:8]
	s_and_b32 s4, s9, vcc_lo
	s_delay_alu instid0(SALU_CYCLE_1)
	s_and_saveexec_b32 s5, s4
	s_cbranch_execz .LBB17_3
; %bb.51:                               ;   in Loop: Header=BB17_4 Depth=1
	v_cmp_nlt_f64_e32 vcc_lo, v[9:10], v[3:4]
	v_cmp_ne_u64_e64 s4, 0, v[1:2]
	v_dual_mov_b32 v12, v10 :: v_dual_mov_b32 v11, v9
	s_delay_alu instid0(VALU_DEP_2) | instskip(NEXT) | instid1(SALU_CYCLE_1)
	s_and_b32 s4, s4, vcc_lo
	s_and_saveexec_b32 s6, s4
	s_cbranch_execz .LBB17_2
; %bb.52:                               ;   in Loop: Header=BB17_4 Depth=1
	v_cmp_eq_f64_e64 s4, v[3:4], v[9:10]
	v_cmp_lt_i64_e32 vcc_lo, v[7:8], v[1:2]
	v_dual_mov_b32 v12, v4 :: v_dual_mov_b32 v11, v3
	v_cndmask_b32_e32 v6, v2, v8, vcc_lo
	s_delay_alu instid0(VALU_DEP_4) | instskip(SKIP_1) | instid1(VALU_DEP_2)
	s_and_b32 vcc_lo, s4, vcc_lo
	v_cndmask_b32_e32 v7, v1, v7, vcc_lo
	v_cndmask_b32_e64 v8, v2, v6, s4
	s_branch .LBB17_2
.LBB17_53:
	v_mov_b32_e32 v1, 0
	v_mov_b32_e32 v2, 0
.LBB17_54:
	s_mov_b32 s15, 0
	s_mov_b32 s2, exec_lo
	v_cmpx_eq_u32_e32 0, v0
	s_cbranch_execz .LBB17_56
; %bb.55:
	s_clause 0x1
	s_load_b32 s2, s[0:1], 0x30
	s_load_b64 s[0:1], s[0:1], 0x28
	v_mov_b32_e32 v0, 0
	s_waitcnt lgkmcnt(0)
	s_mul_hi_u32 s3, s2, s8
	s_mul_i32 s2, s2, s8
	s_delay_alu instid0(SALU_CYCLE_1) | instskip(NEXT) | instid1(SALU_CYCLE_1)
	s_lshl_b64 s[2:3], s[2:3], 4
	s_add_u32 s2, s0, s2
	s_addc_u32 s3, s1, s3
	s_lshl_b64 s[0:1], s[14:15], 4
	s_delay_alu instid0(SALU_CYCLE_1)
	s_add_u32 s0, s2, s0
	s_addc_u32 s1, s3, s1
	global_store_b128 v0, v[1:4], s[0:1]
.LBB17_56:
	s_nop 0
	s_sendmsg sendmsg(MSG_DEALLOC_VGPRS)
	s_endpgm
	.section	.rodata,"a",@progbits
	.p2align	6, 0x0
	.amdhsa_kernel _ZL35rocblas_iamax_iamin_kernel_part1_64ILi1024E26rocblas_fetch_amax_amin_64IdE22rocblas_reduce_amin_64PKPKd24rocblas_index_64_value_tIdEEvlT2_lllPT3_
		.amdhsa_group_segment_fixed_size 512
		.amdhsa_private_segment_fixed_size 0
		.amdhsa_kernarg_size 304
		.amdhsa_user_sgpr_count 14
		.amdhsa_user_sgpr_dispatch_ptr 0
		.amdhsa_user_sgpr_queue_ptr 0
		.amdhsa_user_sgpr_kernarg_segment_ptr 1
		.amdhsa_user_sgpr_dispatch_id 0
		.amdhsa_user_sgpr_private_segment_size 0
		.amdhsa_wavefront_size32 1
		.amdhsa_uses_dynamic_stack 0
		.amdhsa_enable_private_segment 0
		.amdhsa_system_sgpr_workgroup_id_x 1
		.amdhsa_system_sgpr_workgroup_id_y 0
		.amdhsa_system_sgpr_workgroup_id_z 1
		.amdhsa_system_sgpr_workgroup_info 0
		.amdhsa_system_vgpr_workitem_id 0
		.amdhsa_next_free_vgpr 31
		.amdhsa_next_free_sgpr 24
		.amdhsa_reserve_vcc 1
		.amdhsa_float_round_mode_32 0
		.amdhsa_float_round_mode_16_64 0
		.amdhsa_float_denorm_mode_32 3
		.amdhsa_float_denorm_mode_16_64 3
		.amdhsa_dx10_clamp 1
		.amdhsa_ieee_mode 1
		.amdhsa_fp16_overflow 0
		.amdhsa_workgroup_processor_mode 1
		.amdhsa_memory_ordered 1
		.amdhsa_forward_progress 0
		.amdhsa_shared_vgpr_count 0
		.amdhsa_exception_fp_ieee_invalid_op 0
		.amdhsa_exception_fp_denorm_src 0
		.amdhsa_exception_fp_ieee_div_zero 0
		.amdhsa_exception_fp_ieee_overflow 0
		.amdhsa_exception_fp_ieee_underflow 0
		.amdhsa_exception_fp_ieee_inexact 0
		.amdhsa_exception_int_div_zero 0
	.end_amdhsa_kernel
	.section	.text._ZL35rocblas_iamax_iamin_kernel_part1_64ILi1024E26rocblas_fetch_amax_amin_64IdE22rocblas_reduce_amin_64PKPKd24rocblas_index_64_value_tIdEEvlT2_lllPT3_,"axG",@progbits,_ZL35rocblas_iamax_iamin_kernel_part1_64ILi1024E26rocblas_fetch_amax_amin_64IdE22rocblas_reduce_amin_64PKPKd24rocblas_index_64_value_tIdEEvlT2_lllPT3_,comdat
.Lfunc_end17:
	.size	_ZL35rocblas_iamax_iamin_kernel_part1_64ILi1024E26rocblas_fetch_amax_amin_64IdE22rocblas_reduce_amin_64PKPKd24rocblas_index_64_value_tIdEEvlT2_lllPT3_, .Lfunc_end17-_ZL35rocblas_iamax_iamin_kernel_part1_64ILi1024E26rocblas_fetch_amax_amin_64IdE22rocblas_reduce_amin_64PKPKd24rocblas_index_64_value_tIdEEvlT2_lllPT3_
                                        ; -- End function
	.section	.AMDGPU.csdata,"",@progbits
; Kernel info:
; codeLenInByte = 2584
; NumSgprs: 26
; NumVgprs: 31
; ScratchSize: 0
; MemoryBound: 0
; FloatMode: 240
; IeeeMode: 1
; LDSByteSize: 512 bytes/workgroup (compile time only)
; SGPRBlocks: 3
; VGPRBlocks: 3
; NumSGPRsForWavesPerEU: 26
; NumVGPRsForWavesPerEU: 31
; Occupancy: 16
; WaveLimiterHint : 0
; COMPUTE_PGM_RSRC2:SCRATCH_EN: 0
; COMPUTE_PGM_RSRC2:USER_SGPR: 14
; COMPUTE_PGM_RSRC2:TRAP_HANDLER: 0
; COMPUTE_PGM_RSRC2:TGID_X_EN: 1
; COMPUTE_PGM_RSRC2:TGID_Y_EN: 0
; COMPUTE_PGM_RSRC2:TGID_Z_EN: 1
; COMPUTE_PGM_RSRC2:TIDIG_COMP_CNT: 0
	.section	.text._ZL35rocblas_iamax_iamin_kernel_part1_64ILi1024E26rocblas_fetch_amax_amin_64IfE22rocblas_reduce_amin_64PKPK19rocblas_complex_numIfE24rocblas_index_64_value_tIfEEvlT2_lllPT3_,"axG",@progbits,_ZL35rocblas_iamax_iamin_kernel_part1_64ILi1024E26rocblas_fetch_amax_amin_64IfE22rocblas_reduce_amin_64PKPK19rocblas_complex_numIfE24rocblas_index_64_value_tIfEEvlT2_lllPT3_,comdat
	.globl	_ZL35rocblas_iamax_iamin_kernel_part1_64ILi1024E26rocblas_fetch_amax_amin_64IfE22rocblas_reduce_amin_64PKPK19rocblas_complex_numIfE24rocblas_index_64_value_tIfEEvlT2_lllPT3_ ; -- Begin function _ZL35rocblas_iamax_iamin_kernel_part1_64ILi1024E26rocblas_fetch_amax_amin_64IfE22rocblas_reduce_amin_64PKPK19rocblas_complex_numIfE24rocblas_index_64_value_tIfEEvlT2_lllPT3_
	.p2align	8
	.type	_ZL35rocblas_iamax_iamin_kernel_part1_64ILi1024E26rocblas_fetch_amax_amin_64IfE22rocblas_reduce_amin_64PKPK19rocblas_complex_numIfE24rocblas_index_64_value_tIfEEvlT2_lllPT3_,@function
_ZL35rocblas_iamax_iamin_kernel_part1_64ILi1024E26rocblas_fetch_amax_amin_64IfE22rocblas_reduce_amin_64PKPK19rocblas_complex_numIfE24rocblas_index_64_value_tIfEEvlT2_lllPT3_: ; @_ZL35rocblas_iamax_iamin_kernel_part1_64ILi1024E26rocblas_fetch_amax_amin_64IfE22rocblas_reduce_amin_64PKPK19rocblas_complex_numIfE24rocblas_index_64_value_tIfEEvlT2_lllPT3_
; %bb.0:
	s_load_b256 s[16:23], s[0:1], 0x0
	s_mov_b32 s8, s15
	s_mov_b32 s9, 0
	s_waitcnt lgkmcnt(0)
	v_cmp_lt_i64_e64 s2, s[16:17], 1
	s_delay_alu instid0(VALU_DEP_1)
	s_and_b32 vcc_lo, exec_lo, s2
	s_cbranch_vccnz .LBB18_53
; %bb.1:
	v_mbcnt_lo_u32_b32 v5, -1, 0
	v_lshl_or_b32 v14, s14, 10, v0
	s_lshl_b64 s[2:3], s[8:9], 3
	s_load_b32 s6, s[0:1], 0x30
	s_add_u32 s2, s18, s2
	v_cmp_gt_u32_e32 vcc_lo, 16, v5
	s_addc_u32 s3, s19, s3
	v_and_b32_e32 v6, 31, v0
	s_load_b64 s[4:5], s[2:3], 0x0
	s_lshl_b64 s[10:11], s[20:21], 3
	v_cndmask_b32_e64 v1, 0, 1, vcc_lo
	v_cmp_gt_u32_e32 vcc_lo, 24, v5
	v_cmp_eq_u32_e64 s3, 0, v6
	v_cmp_gt_u32_e64 s2, 32, v0
	s_mov_b64 s[12:13], 0
	v_lshlrev_b32_e32 v3, 4, v1
	v_cndmask_b32_e64 v4, 0, 1, vcc_lo
	v_cmp_gt_u32_e32 vcc_lo, 28, v5
	v_mad_u64_u32 v[1:2], null, s22, v14, 0
	s_delay_alu instid0(VALU_DEP_4) | instskip(NEXT) | instid1(VALU_DEP_4)
	v_add_lshl_u32 v16, v3, v5, 2
	v_lshlrev_b32_e32 v9, 3, v4
	v_cndmask_b32_e64 v7, 0, 1, vcc_lo
	v_cmp_gt_u32_e32 vcc_lo, 30, v5
	s_waitcnt lgkmcnt(0)
	s_lshl_b32 s7, s6, 10
                                        ; implicit-def: $vgpr22
	v_mad_u64_u32 v[3:4], null, s23, v14, v[2:3]
	v_cndmask_b32_e64 v8, 0, 1, vcc_lo
	v_cmp_ne_u32_e32 vcc_lo, 31, v5
	v_lshlrev_b32_e32 v7, 2, v7
	v_lshlrev_b32_e32 v15, 4, v6
	s_add_u32 s4, s4, s10
	v_lshlrev_b32_e32 v8, 1, v8
	v_add_co_ci_u32_e32 v2, vcc_lo, 0, v5, vcc_lo
	v_add_lshl_u32 v18, v7, v5, 2
	v_mov_b32_e32 v6, 0
	s_delay_alu instid0(VALU_DEP_3)
	v_dual_mov_b32 v7, 0 :: v_dual_lshlrev_b32 v20, 2, v2
	v_mov_b32_e32 v2, v3
	s_addc_u32 s5, s5, s11
	v_lshrrev_b32_e32 v4, 1, v0
	v_add_lshl_u32 v19, v8, v5, 2
	v_cmp_ne_u32_e32 vcc_lo, 0, v0
	v_lshlrev_b64 v[1:2], 3, v[1:2]
	v_add_lshl_u32 v17, v9, v5, 2
	s_mul_hi_u32 s6, s22, s7
	v_dual_mov_b32 v4, 0 :: v_dual_and_b32 v21, 0x1f0, v4
	s_xor_b32 s9, vcc_lo, -1
	s_delay_alu instid0(VALU_DEP_3) | instskip(NEXT) | instid1(VALU_DEP_1)
	v_add_co_u32 v1, s4, s4, v1
	v_add_co_ci_u32_e64 v2, s4, s5, v2, s4
	s_mul_i32 s5, s23, s7
	s_delay_alu instid0(VALU_DEP_2) | instskip(NEXT) | instid1(VALU_DEP_1)
	v_add_co_u32 v8, s4, v1, 4
	v_add_co_ci_u32_e64 v9, s4, 0, v2, s4
	v_dual_mov_b32 v1, v6 :: v_dual_mov_b32 v2, v7
	s_add_i32 s5, s6, s5
	s_mul_i32 s4, s22, s7
	s_delay_alu instid0(SALU_CYCLE_1)
	s_lshl_b64 s[10:11], s[4:5], 3
	s_branch .LBB18_4
.LBB18_2:                               ;   in Loop: Header=BB18_4 Depth=1
	s_or_b32 exec_lo, exec_lo, s6
	s_delay_alu instid0(VALU_DEP_2) | instskip(NEXT) | instid1(VALU_DEP_2)
	v_dual_mov_b32 v1, v10 :: v_dual_mov_b32 v2, v11
	v_mov_b32_e32 v3, v5
.LBB18_3:                               ;   in Loop: Header=BB18_4 Depth=1
	s_or_b32 exec_lo, exec_lo, s5
	s_add_u32 s12, s12, s7
	s_addc_u32 s13, s13, 0
	v_add_co_u32 v8, vcc_lo, v8, s10
	v_cmp_ge_i64_e64 s4, s[12:13], s[16:17]
	v_add_co_ci_u32_e32 v9, vcc_lo, s11, v9, vcc_lo
	s_delay_alu instid0(VALU_DEP_2)
	s_and_b32 vcc_lo, exec_lo, s4
	s_cbranch_vccnz .LBB18_54
.LBB18_4:                               ; =>This Inner Loop Header: Depth=1
	v_add_co_u32 v12, s4, v14, s12
	s_delay_alu instid0(VALU_DEP_1) | instskip(SKIP_2) | instid1(VALU_DEP_2)
	v_add_co_ci_u32_e64 v13, null, 0, s13, s4
	v_dual_mov_b32 v11, v7 :: v_dual_mov_b32 v10, v6
	s_mov_b32 s4, exec_lo
	v_cmpx_gt_i64_e64 s[16:17], v[12:13]
	s_cbranch_execz .LBB18_6
; %bb.5:                                ;   in Loop: Header=BB18_4 Depth=1
	global_load_b64 v[10:11], v[8:9], off offset:-4
	s_waitcnt vmcnt(0)
	v_cmp_gt_f32_e32 vcc_lo, 0, v10
	v_cndmask_b32_e64 v5, v10, -v10, vcc_lo
	v_cmp_gt_f32_e32 vcc_lo, 0, v11
	s_waitcnt lgkmcnt(0)
	v_cndmask_b32_e64 v22, v11, -v11, vcc_lo
	v_add_co_u32 v10, vcc_lo, v12, 1
	v_add_co_ci_u32_e32 v11, vcc_lo, 0, v13, vcc_lo
	s_delay_alu instid0(VALU_DEP_3)
	v_add_f32_e32 v22, v5, v22
.LBB18_6:                               ;   in Loop: Header=BB18_4 Depth=1
	s_or_b32 exec_lo, exec_lo, s4
	s_and_saveexec_b32 s4, s2
	s_cbranch_execz .LBB18_8
; %bb.7:                                ;   in Loop: Header=BB18_4 Depth=1
	v_mov_b32_e32 v5, v4
	ds_store_b64 v15, v[4:5]
	ds_store_b32 v15, v4 offset:8
.LBB18_8:                               ;   in Loop: Header=BB18_4 Depth=1
	s_or_b32 exec_lo, exec_lo, s4
	ds_bpermute_b32 v12, v16, v10
	ds_bpermute_b32 v13, v16, v11
	s_waitcnt lgkmcnt(2)
	ds_bpermute_b32 v23, v16, v22
	v_mov_b32_e32 v5, v22
	s_mov_b32 s5, exec_lo
	s_waitcnt lgkmcnt(0)
	s_barrier
	buffer_gl0_inv
	v_cmpx_ne_u64_e32 0, v[12:13]
	s_cbranch_execz .LBB18_12
; %bb.9:                                ;   in Loop: Header=BB18_4 Depth=1
	v_cmp_ne_u64_e32 vcc_lo, 0, v[10:11]
	v_cmp_ngt_f32_e64 s4, v22, v23
	s_delay_alu instid0(VALU_DEP_1) | instskip(NEXT) | instid1(SALU_CYCLE_1)
	s_and_b32 s4, vcc_lo, s4
	s_and_saveexec_b32 s6, s4
; %bb.10:                               ;   in Loop: Header=BB18_4 Depth=1
	v_cmp_lt_i64_e32 vcc_lo, v[12:13], v[10:11]
	v_cmp_eq_f32_e64 s4, v22, v23
	v_mov_b32_e32 v23, v22
	v_cndmask_b32_e32 v5, v11, v13, vcc_lo
	s_delay_alu instid0(VALU_DEP_3) | instskip(SKIP_1) | instid1(VALU_DEP_2)
	s_and_b32 vcc_lo, s4, vcc_lo
	v_cndmask_b32_e32 v12, v10, v12, vcc_lo
	v_cndmask_b32_e64 v13, v11, v5, s4
; %bb.11:                               ;   in Loop: Header=BB18_4 Depth=1
	s_or_b32 exec_lo, exec_lo, s6
	s_delay_alu instid0(VALU_DEP_2) | instskip(NEXT) | instid1(VALU_DEP_2)
	v_dual_mov_b32 v10, v12 :: v_dual_mov_b32 v5, v23
	v_dual_mov_b32 v22, v23 :: v_dual_mov_b32 v11, v13
.LBB18_12:                              ;   in Loop: Header=BB18_4 Depth=1
	s_or_b32 exec_lo, exec_lo, s5
	ds_bpermute_b32 v12, v17, v10
	ds_bpermute_b32 v13, v17, v11
	;; [unrolled: 1-line block ×3, first 2 shown]
	s_mov_b32 s5, exec_lo
	s_waitcnt lgkmcnt(1)
	v_cmpx_ne_u64_e32 0, v[12:13]
	s_cbranch_execz .LBB18_16
; %bb.13:                               ;   in Loop: Header=BB18_4 Depth=1
	v_cmp_ne_u64_e32 vcc_lo, 0, v[10:11]
	s_waitcnt lgkmcnt(0)
	v_cmp_ngt_f32_e64 s4, v5, v23
	v_mov_b32_e32 v24, v23
	s_delay_alu instid0(VALU_DEP_2) | instskip(NEXT) | instid1(SALU_CYCLE_1)
	s_and_b32 s4, vcc_lo, s4
	s_and_saveexec_b32 s6, s4
; %bb.14:                               ;   in Loop: Header=BB18_4 Depth=1
	v_cmp_lt_i64_e32 vcc_lo, v[12:13], v[10:11]
	v_cmp_eq_f32_e64 s4, v5, v23
	v_dual_mov_b32 v23, v22 :: v_dual_mov_b32 v24, v5
	v_cndmask_b32_e32 v13, v11, v13, vcc_lo
	s_delay_alu instid0(VALU_DEP_3) | instskip(SKIP_1) | instid1(VALU_DEP_2)
	s_and_b32 vcc_lo, s4, vcc_lo
	v_cndmask_b32_e32 v12, v10, v12, vcc_lo
	v_cndmask_b32_e64 v13, v11, v13, s4
; %bb.15:                               ;   in Loop: Header=BB18_4 Depth=1
	s_or_b32 exec_lo, exec_lo, s6
	s_delay_alu instid0(VALU_DEP_2) | instskip(NEXT) | instid1(VALU_DEP_2)
	v_mov_b32_e32 v10, v12
	v_dual_mov_b32 v22, v23 :: v_dual_mov_b32 v11, v13
	v_mov_b32_e32 v5, v24
.LBB18_16:                              ;   in Loop: Header=BB18_4 Depth=1
	s_or_b32 exec_lo, exec_lo, s5
	ds_bpermute_b32 v12, v18, v10
	ds_bpermute_b32 v13, v18, v11
	s_waitcnt lgkmcnt(2)
	ds_bpermute_b32 v23, v18, v22
	s_mov_b32 s5, exec_lo
	s_waitcnt lgkmcnt(1)
	v_cmpx_ne_u64_e32 0, v[12:13]
	s_cbranch_execz .LBB18_20
; %bb.17:                               ;   in Loop: Header=BB18_4 Depth=1
	v_cmp_ne_u64_e32 vcc_lo, 0, v[10:11]
	s_waitcnt lgkmcnt(0)
	v_cmp_ngt_f32_e64 s4, v5, v23
	v_mov_b32_e32 v24, v23
	s_delay_alu instid0(VALU_DEP_2) | instskip(NEXT) | instid1(SALU_CYCLE_1)
	s_and_b32 s4, vcc_lo, s4
	s_and_saveexec_b32 s6, s4
; %bb.18:                               ;   in Loop: Header=BB18_4 Depth=1
	v_cmp_lt_i64_e32 vcc_lo, v[12:13], v[10:11]
	v_cmp_eq_f32_e64 s4, v5, v23
	v_dual_mov_b32 v23, v22 :: v_dual_mov_b32 v24, v5
	v_cndmask_b32_e32 v13, v11, v13, vcc_lo
	s_delay_alu instid0(VALU_DEP_3) | instskip(SKIP_1) | instid1(VALU_DEP_2)
	s_and_b32 vcc_lo, s4, vcc_lo
	v_cndmask_b32_e32 v12, v10, v12, vcc_lo
	v_cndmask_b32_e64 v13, v11, v13, s4
; %bb.19:                               ;   in Loop: Header=BB18_4 Depth=1
	s_or_b32 exec_lo, exec_lo, s6
	s_delay_alu instid0(VALU_DEP_2) | instskip(NEXT) | instid1(VALU_DEP_2)
	v_mov_b32_e32 v10, v12
	v_dual_mov_b32 v22, v23 :: v_dual_mov_b32 v11, v13
	v_mov_b32_e32 v5, v24
.LBB18_20:                              ;   in Loop: Header=BB18_4 Depth=1
	s_or_b32 exec_lo, exec_lo, s5
	ds_bpermute_b32 v12, v19, v10
	ds_bpermute_b32 v13, v19, v11
	s_waitcnt lgkmcnt(2)
	ds_bpermute_b32 v23, v19, v22
	s_mov_b32 s5, exec_lo
	s_waitcnt lgkmcnt(1)
	v_cmpx_ne_u64_e32 0, v[12:13]
	s_cbranch_execz .LBB18_24
; %bb.21:                               ;   in Loop: Header=BB18_4 Depth=1
	v_cmp_ne_u64_e32 vcc_lo, 0, v[10:11]
	s_waitcnt lgkmcnt(0)
	v_cmp_ngt_f32_e64 s4, v5, v23
	v_mov_b32_e32 v24, v23
	s_delay_alu instid0(VALU_DEP_2) | instskip(NEXT) | instid1(SALU_CYCLE_1)
	s_and_b32 s4, vcc_lo, s4
	s_and_saveexec_b32 s6, s4
; %bb.22:                               ;   in Loop: Header=BB18_4 Depth=1
	v_cmp_lt_i64_e32 vcc_lo, v[12:13], v[10:11]
	v_cmp_eq_f32_e64 s4, v5, v23
	v_dual_mov_b32 v23, v22 :: v_dual_mov_b32 v24, v5
	v_cndmask_b32_e32 v13, v11, v13, vcc_lo
	s_delay_alu instid0(VALU_DEP_3) | instskip(SKIP_1) | instid1(VALU_DEP_2)
	s_and_b32 vcc_lo, s4, vcc_lo
	v_cndmask_b32_e32 v12, v10, v12, vcc_lo
	v_cndmask_b32_e64 v13, v11, v13, s4
; %bb.23:                               ;   in Loop: Header=BB18_4 Depth=1
	s_or_b32 exec_lo, exec_lo, s6
	s_delay_alu instid0(VALU_DEP_2) | instskip(NEXT) | instid1(VALU_DEP_2)
	v_mov_b32_e32 v10, v12
	v_dual_mov_b32 v22, v23 :: v_dual_mov_b32 v11, v13
	v_mov_b32_e32 v5, v24
.LBB18_24:                              ;   in Loop: Header=BB18_4 Depth=1
	s_or_b32 exec_lo, exec_lo, s5
	ds_bpermute_b32 v12, v20, v10
	ds_bpermute_b32 v13, v20, v11
	;; [unrolled: 1-line block ×3, first 2 shown]
	s_mov_b32 s15, exec_lo
	s_waitcnt lgkmcnt(1)
	v_cmpx_ne_u64_e32 0, v[12:13]
	s_cbranch_execz .LBB18_26
; %bb.25:                               ;   in Loop: Header=BB18_4 Depth=1
	v_cmp_lt_i64_e32 vcc_lo, v[12:13], v[10:11]
	s_waitcnt lgkmcnt(0)
	v_cmp_eq_f32_e64 s4, v5, v22
	v_cmp_eq_u64_e64 s5, 0, v[10:11]
	v_cmp_gt_f32_e64 s6, v5, v22
	s_delay_alu instid0(VALU_DEP_3) | instskip(NEXT) | instid1(VALU_DEP_1)
	s_and_b32 vcc_lo, s4, vcc_lo
	s_or_b32 s4, s5, s6
	v_cndmask_b32_e32 v11, v11, v13, vcc_lo
	s_or_b32 vcc_lo, s4, vcc_lo
	v_cndmask_b32_e64 v5, v5, v22, s4
	v_cndmask_b32_e32 v10, v10, v12, vcc_lo
	s_delay_alu instid0(VALU_DEP_3)
	v_cndmask_b32_e64 v11, v11, v13, s4
.LBB18_26:                              ;   in Loop: Header=BB18_4 Depth=1
	s_or_b32 exec_lo, exec_lo, s15
	s_and_saveexec_b32 s4, s3
	s_cbranch_execz .LBB18_28
; %bb.27:                               ;   in Loop: Header=BB18_4 Depth=1
	ds_store_b64 v21, v[10:11]
	ds_store_b32 v21, v5 offset:8
.LBB18_28:                              ;   in Loop: Header=BB18_4 Depth=1
	s_or_b32 exec_lo, exec_lo, s4
	v_mov_b32_e32 v10, 0
	s_waitcnt lgkmcnt(0)
	v_dual_mov_b32 v11, 0 :: v_dual_mov_b32 v22, 0
	s_barrier
	buffer_gl0_inv
	s_and_saveexec_b32 s4, s2
	s_cbranch_execz .LBB18_30
; %bb.29:                               ;   in Loop: Header=BB18_4 Depth=1
	ds_load_b64 v[10:11], v15
	ds_load_b32 v22, v15 offset:8
.LBB18_30:                              ;   in Loop: Header=BB18_4 Depth=1
	s_or_b32 exec_lo, exec_lo, s4
	s_and_saveexec_b32 s15, s2
	s_cbranch_execz .LBB18_50
; %bb.31:                               ;   in Loop: Header=BB18_4 Depth=1
	s_waitcnt lgkmcnt(1)
	ds_bpermute_b32 v12, v16, v10
	ds_bpermute_b32 v13, v16, v11
	s_waitcnt lgkmcnt(2)
	ds_bpermute_b32 v23, v16, v22
	v_mov_b32_e32 v5, v22
	s_mov_b32 s5, exec_lo
	s_waitcnt lgkmcnt(1)
	v_cmpx_ne_u64_e32 0, v[12:13]
	s_cbranch_execz .LBB18_35
; %bb.32:                               ;   in Loop: Header=BB18_4 Depth=1
	v_cmp_ne_u64_e32 vcc_lo, 0, v[10:11]
	s_waitcnt lgkmcnt(0)
	v_cmp_ngt_f32_e64 s4, v22, v23
	s_delay_alu instid0(VALU_DEP_1) | instskip(NEXT) | instid1(SALU_CYCLE_1)
	s_and_b32 s4, vcc_lo, s4
	s_and_saveexec_b32 s6, s4
; %bb.33:                               ;   in Loop: Header=BB18_4 Depth=1
	v_cmp_lt_i64_e32 vcc_lo, v[12:13], v[10:11]
	v_cmp_eq_f32_e64 s4, v22, v23
	v_mov_b32_e32 v23, v22
	v_cndmask_b32_e32 v5, v11, v13, vcc_lo
	s_delay_alu instid0(VALU_DEP_3) | instskip(SKIP_1) | instid1(VALU_DEP_2)
	s_and_b32 vcc_lo, s4, vcc_lo
	v_cndmask_b32_e32 v12, v10, v12, vcc_lo
	v_cndmask_b32_e64 v13, v11, v5, s4
; %bb.34:                               ;   in Loop: Header=BB18_4 Depth=1
	s_or_b32 exec_lo, exec_lo, s6
	s_delay_alu instid0(VALU_DEP_2) | instskip(NEXT) | instid1(VALU_DEP_2)
	v_dual_mov_b32 v10, v12 :: v_dual_mov_b32 v5, v23
	v_dual_mov_b32 v22, v23 :: v_dual_mov_b32 v11, v13
.LBB18_35:                              ;   in Loop: Header=BB18_4 Depth=1
	s_or_b32 exec_lo, exec_lo, s5
	ds_bpermute_b32 v12, v17, v10
	ds_bpermute_b32 v13, v17, v11
	s_waitcnt lgkmcnt(2)
	ds_bpermute_b32 v23, v17, v22
	s_mov_b32 s5, exec_lo
	s_waitcnt lgkmcnt(1)
	v_cmpx_ne_u64_e32 0, v[12:13]
	s_cbranch_execz .LBB18_39
; %bb.36:                               ;   in Loop: Header=BB18_4 Depth=1
	v_cmp_ne_u64_e32 vcc_lo, 0, v[10:11]
	s_waitcnt lgkmcnt(0)
	v_cmp_ngt_f32_e64 s4, v5, v23
	v_mov_b32_e32 v24, v23
	s_delay_alu instid0(VALU_DEP_2) | instskip(NEXT) | instid1(SALU_CYCLE_1)
	s_and_b32 s4, vcc_lo, s4
	s_and_saveexec_b32 s6, s4
; %bb.37:                               ;   in Loop: Header=BB18_4 Depth=1
	v_cmp_lt_i64_e32 vcc_lo, v[12:13], v[10:11]
	v_cmp_eq_f32_e64 s4, v5, v23
	v_dual_mov_b32 v23, v22 :: v_dual_mov_b32 v24, v5
	v_cndmask_b32_e32 v13, v11, v13, vcc_lo
	s_delay_alu instid0(VALU_DEP_3) | instskip(SKIP_1) | instid1(VALU_DEP_2)
	s_and_b32 vcc_lo, s4, vcc_lo
	v_cndmask_b32_e32 v12, v10, v12, vcc_lo
	v_cndmask_b32_e64 v13, v11, v13, s4
; %bb.38:                               ;   in Loop: Header=BB18_4 Depth=1
	s_or_b32 exec_lo, exec_lo, s6
	s_delay_alu instid0(VALU_DEP_2) | instskip(NEXT) | instid1(VALU_DEP_2)
	v_mov_b32_e32 v10, v12
	v_dual_mov_b32 v22, v23 :: v_dual_mov_b32 v11, v13
	v_mov_b32_e32 v5, v24
.LBB18_39:                              ;   in Loop: Header=BB18_4 Depth=1
	s_or_b32 exec_lo, exec_lo, s5
	ds_bpermute_b32 v12, v18, v10
	ds_bpermute_b32 v13, v18, v11
	s_waitcnt lgkmcnt(2)
	ds_bpermute_b32 v23, v18, v22
	s_mov_b32 s5, exec_lo
	s_waitcnt lgkmcnt(1)
	v_cmpx_ne_u64_e32 0, v[12:13]
	s_cbranch_execz .LBB18_43
; %bb.40:                               ;   in Loop: Header=BB18_4 Depth=1
	v_cmp_ne_u64_e32 vcc_lo, 0, v[10:11]
	s_waitcnt lgkmcnt(0)
	v_cmp_ngt_f32_e64 s4, v5, v23
	v_mov_b32_e32 v24, v23
	s_delay_alu instid0(VALU_DEP_2) | instskip(NEXT) | instid1(SALU_CYCLE_1)
	s_and_b32 s4, vcc_lo, s4
	s_and_saveexec_b32 s6, s4
; %bb.41:                               ;   in Loop: Header=BB18_4 Depth=1
	v_cmp_lt_i64_e32 vcc_lo, v[12:13], v[10:11]
	v_cmp_eq_f32_e64 s4, v5, v23
	v_dual_mov_b32 v23, v22 :: v_dual_mov_b32 v24, v5
	v_cndmask_b32_e32 v13, v11, v13, vcc_lo
	s_delay_alu instid0(VALU_DEP_3) | instskip(SKIP_1) | instid1(VALU_DEP_2)
	s_and_b32 vcc_lo, s4, vcc_lo
	v_cndmask_b32_e32 v12, v10, v12, vcc_lo
	v_cndmask_b32_e64 v13, v11, v13, s4
; %bb.42:                               ;   in Loop: Header=BB18_4 Depth=1
	s_or_b32 exec_lo, exec_lo, s6
	s_delay_alu instid0(VALU_DEP_2) | instskip(NEXT) | instid1(VALU_DEP_2)
	v_mov_b32_e32 v10, v12
	v_dual_mov_b32 v22, v23 :: v_dual_mov_b32 v11, v13
	v_mov_b32_e32 v5, v24
.LBB18_43:                              ;   in Loop: Header=BB18_4 Depth=1
	;; [unrolled: 33-line block ×3, first 2 shown]
	s_or_b32 exec_lo, exec_lo, s5
	ds_bpermute_b32 v12, v20, v10
	ds_bpermute_b32 v13, v20, v11
	;; [unrolled: 1-line block ×3, first 2 shown]
	s_mov_b32 s18, exec_lo
	s_waitcnt lgkmcnt(1)
	v_cmpx_ne_u64_e32 0, v[12:13]
	s_cbranch_execz .LBB18_49
; %bb.48:                               ;   in Loop: Header=BB18_4 Depth=1
	v_cmp_lt_i64_e32 vcc_lo, v[12:13], v[10:11]
	s_waitcnt lgkmcnt(0)
	v_cmp_eq_f32_e64 s4, v5, v22
	v_cmp_eq_u64_e64 s5, 0, v[10:11]
	v_cmp_gt_f32_e64 s6, v5, v22
	s_delay_alu instid0(VALU_DEP_3) | instskip(NEXT) | instid1(VALU_DEP_1)
	s_and_b32 vcc_lo, s4, vcc_lo
	s_or_b32 s4, s5, s6
	v_cndmask_b32_e32 v11, v11, v13, vcc_lo
	s_or_b32 vcc_lo, s4, vcc_lo
	v_cndmask_b32_e64 v5, v5, v22, s4
	v_cndmask_b32_e32 v10, v10, v12, vcc_lo
	s_delay_alu instid0(VALU_DEP_3)
	v_cndmask_b32_e64 v11, v11, v13, s4
.LBB18_49:                              ;   in Loop: Header=BB18_4 Depth=1
	s_or_b32 exec_lo, exec_lo, s18
	s_waitcnt lgkmcnt(0)
	v_mov_b32_e32 v22, v5
.LBB18_50:                              ;   in Loop: Header=BB18_4 Depth=1
	s_or_b32 exec_lo, exec_lo, s15
	s_waitcnt lgkmcnt(1)
	v_cmp_ne_u64_e32 vcc_lo, 0, v[10:11]
	s_and_b32 s4, s9, vcc_lo
	s_delay_alu instid0(SALU_CYCLE_1)
	s_and_saveexec_b32 s5, s4
	s_cbranch_execz .LBB18_3
; %bb.51:                               ;   in Loop: Header=BB18_4 Depth=1
	v_cmp_ne_u64_e32 vcc_lo, 0, v[1:2]
	s_waitcnt lgkmcnt(0)
	v_cmp_nlt_f32_e64 s4, v22, v3
	v_mov_b32_e32 v5, v22
	s_delay_alu instid0(VALU_DEP_2) | instskip(NEXT) | instid1(SALU_CYCLE_1)
	s_and_b32 s4, vcc_lo, s4
	s_and_saveexec_b32 s6, s4
	s_cbranch_execz .LBB18_2
; %bb.52:                               ;   in Loop: Header=BB18_4 Depth=1
	v_cmp_lt_i64_e32 vcc_lo, v[10:11], v[1:2]
	v_cmp_eq_f32_e64 s4, v3, v22
	v_cndmask_b32_e32 v5, v2, v11, vcc_lo
	s_delay_alu instid0(VALU_DEP_2) | instskip(SKIP_1) | instid1(VALU_DEP_2)
	s_and_b32 vcc_lo, s4, vcc_lo
	v_cndmask_b32_e32 v10, v1, v10, vcc_lo
	v_cndmask_b32_e64 v11, v2, v5, s4
	v_mov_b32_e32 v5, v3
	s_branch .LBB18_2
.LBB18_53:
	v_mov_b32_e32 v1, 0
	v_mov_b32_e32 v2, 0
.LBB18_54:
	s_mov_b32 s15, 0
	s_mov_b32 s2, exec_lo
	v_cmpx_eq_u32_e32 0, v0
	s_cbranch_execz .LBB18_56
; %bb.55:
	s_clause 0x1
	s_load_b32 s2, s[0:1], 0x30
	s_load_b64 s[0:1], s[0:1], 0x28
	v_mov_b32_e32 v0, 0
	s_waitcnt lgkmcnt(0)
	s_mul_hi_u32 s3, s2, s8
	s_mul_i32 s2, s2, s8
	s_delay_alu instid0(SALU_CYCLE_1) | instskip(NEXT) | instid1(SALU_CYCLE_1)
	s_lshl_b64 s[2:3], s[2:3], 4
	s_add_u32 s2, s0, s2
	s_addc_u32 s3, s1, s3
	s_lshl_b64 s[0:1], s[14:15], 4
	s_delay_alu instid0(SALU_CYCLE_1)
	s_add_u32 s0, s2, s0
	s_addc_u32 s1, s3, s1
	global_store_b96 v0, v[1:3], s[0:1]
.LBB18_56:
	s_nop 0
	s_sendmsg sendmsg(MSG_DEALLOC_VGPRS)
	s_endpgm
	.section	.rodata,"a",@progbits
	.p2align	6, 0x0
	.amdhsa_kernel _ZL35rocblas_iamax_iamin_kernel_part1_64ILi1024E26rocblas_fetch_amax_amin_64IfE22rocblas_reduce_amin_64PKPK19rocblas_complex_numIfE24rocblas_index_64_value_tIfEEvlT2_lllPT3_
		.amdhsa_group_segment_fixed_size 512
		.amdhsa_private_segment_fixed_size 0
		.amdhsa_kernarg_size 304
		.amdhsa_user_sgpr_count 14
		.amdhsa_user_sgpr_dispatch_ptr 0
		.amdhsa_user_sgpr_queue_ptr 0
		.amdhsa_user_sgpr_kernarg_segment_ptr 1
		.amdhsa_user_sgpr_dispatch_id 0
		.amdhsa_user_sgpr_private_segment_size 0
		.amdhsa_wavefront_size32 1
		.amdhsa_uses_dynamic_stack 0
		.amdhsa_enable_private_segment 0
		.amdhsa_system_sgpr_workgroup_id_x 1
		.amdhsa_system_sgpr_workgroup_id_y 0
		.amdhsa_system_sgpr_workgroup_id_z 1
		.amdhsa_system_sgpr_workgroup_info 0
		.amdhsa_system_vgpr_workitem_id 0
		.amdhsa_next_free_vgpr 25
		.amdhsa_next_free_sgpr 24
		.amdhsa_reserve_vcc 1
		.amdhsa_float_round_mode_32 0
		.amdhsa_float_round_mode_16_64 0
		.amdhsa_float_denorm_mode_32 3
		.amdhsa_float_denorm_mode_16_64 3
		.amdhsa_dx10_clamp 1
		.amdhsa_ieee_mode 1
		.amdhsa_fp16_overflow 0
		.amdhsa_workgroup_processor_mode 1
		.amdhsa_memory_ordered 1
		.amdhsa_forward_progress 0
		.amdhsa_shared_vgpr_count 0
		.amdhsa_exception_fp_ieee_invalid_op 0
		.amdhsa_exception_fp_denorm_src 0
		.amdhsa_exception_fp_ieee_div_zero 0
		.amdhsa_exception_fp_ieee_overflow 0
		.amdhsa_exception_fp_ieee_underflow 0
		.amdhsa_exception_fp_ieee_inexact 0
		.amdhsa_exception_int_div_zero 0
	.end_amdhsa_kernel
	.section	.text._ZL35rocblas_iamax_iamin_kernel_part1_64ILi1024E26rocblas_fetch_amax_amin_64IfE22rocblas_reduce_amin_64PKPK19rocblas_complex_numIfE24rocblas_index_64_value_tIfEEvlT2_lllPT3_,"axG",@progbits,_ZL35rocblas_iamax_iamin_kernel_part1_64ILi1024E26rocblas_fetch_amax_amin_64IfE22rocblas_reduce_amin_64PKPK19rocblas_complex_numIfE24rocblas_index_64_value_tIfEEvlT2_lllPT3_,comdat
.Lfunc_end18:
	.size	_ZL35rocblas_iamax_iamin_kernel_part1_64ILi1024E26rocblas_fetch_amax_amin_64IfE22rocblas_reduce_amin_64PKPK19rocblas_complex_numIfE24rocblas_index_64_value_tIfEEvlT2_lllPT3_, .Lfunc_end18-_ZL35rocblas_iamax_iamin_kernel_part1_64ILi1024E26rocblas_fetch_amax_amin_64IfE22rocblas_reduce_amin_64PKPK19rocblas_complex_numIfE24rocblas_index_64_value_tIfEEvlT2_lllPT3_
                                        ; -- End function
	.section	.AMDGPU.csdata,"",@progbits
; Kernel info:
; codeLenInByte = 2332
; NumSgprs: 26
; NumVgprs: 25
; ScratchSize: 0
; MemoryBound: 0
; FloatMode: 240
; IeeeMode: 1
; LDSByteSize: 512 bytes/workgroup (compile time only)
; SGPRBlocks: 3
; VGPRBlocks: 3
; NumSGPRsForWavesPerEU: 26
; NumVGPRsForWavesPerEU: 25
; Occupancy: 16
; WaveLimiterHint : 0
; COMPUTE_PGM_RSRC2:SCRATCH_EN: 0
; COMPUTE_PGM_RSRC2:USER_SGPR: 14
; COMPUTE_PGM_RSRC2:TRAP_HANDLER: 0
; COMPUTE_PGM_RSRC2:TGID_X_EN: 1
; COMPUTE_PGM_RSRC2:TGID_Y_EN: 0
; COMPUTE_PGM_RSRC2:TGID_Z_EN: 1
; COMPUTE_PGM_RSRC2:TIDIG_COMP_CNT: 0
	.section	.text._ZL35rocblas_iamax_iamin_kernel_part1_64ILi1024E26rocblas_fetch_amax_amin_64IdE22rocblas_reduce_amin_64PKPK19rocblas_complex_numIdE24rocblas_index_64_value_tIdEEvlT2_lllPT3_,"axG",@progbits,_ZL35rocblas_iamax_iamin_kernel_part1_64ILi1024E26rocblas_fetch_amax_amin_64IdE22rocblas_reduce_amin_64PKPK19rocblas_complex_numIdE24rocblas_index_64_value_tIdEEvlT2_lllPT3_,comdat
	.globl	_ZL35rocblas_iamax_iamin_kernel_part1_64ILi1024E26rocblas_fetch_amax_amin_64IdE22rocblas_reduce_amin_64PKPK19rocblas_complex_numIdE24rocblas_index_64_value_tIdEEvlT2_lllPT3_ ; -- Begin function _ZL35rocblas_iamax_iamin_kernel_part1_64ILi1024E26rocblas_fetch_amax_amin_64IdE22rocblas_reduce_amin_64PKPK19rocblas_complex_numIdE24rocblas_index_64_value_tIdEEvlT2_lllPT3_
	.p2align	8
	.type	_ZL35rocblas_iamax_iamin_kernel_part1_64ILi1024E26rocblas_fetch_amax_amin_64IdE22rocblas_reduce_amin_64PKPK19rocblas_complex_numIdE24rocblas_index_64_value_tIdEEvlT2_lllPT3_,@function
_ZL35rocblas_iamax_iamin_kernel_part1_64ILi1024E26rocblas_fetch_amax_amin_64IdE22rocblas_reduce_amin_64PKPK19rocblas_complex_numIdE24rocblas_index_64_value_tIdEEvlT2_lllPT3_: ; @_ZL35rocblas_iamax_iamin_kernel_part1_64ILi1024E26rocblas_fetch_amax_amin_64IdE22rocblas_reduce_amin_64PKPK19rocblas_complex_numIdE24rocblas_index_64_value_tIdEEvlT2_lllPT3_
; %bb.0:
	s_load_b256 s[16:23], s[0:1], 0x0
	s_mov_b32 s8, s15
	s_mov_b32 s9, 0
	s_waitcnt lgkmcnt(0)
	v_cmp_lt_i64_e64 s2, s[16:17], 1
	s_delay_alu instid0(VALU_DEP_1)
	s_and_b32 vcc_lo, exec_lo, s2
	s_cbranch_vccnz .LBB19_53
; %bb.1:
	v_mbcnt_lo_u32_b32 v5, -1, 0
	v_lshl_or_b32 v23, s14, 10, v0
	s_lshl_b64 s[2:3], s[8:9], 3
	s_load_b32 s6, s[0:1], 0x30
	s_add_u32 s2, s18, s2
	v_cmp_gt_u32_e32 vcc_lo, 16, v5
	s_addc_u32 s3, s19, s3
	s_lshl_b64 s[10:11], s[20:21], 4
	s_load_b64 s[4:5], s[2:3], 0x0
	v_and_b32_e32 v6, 31, v0
	v_cndmask_b32_e64 v1, 0, 1, vcc_lo
	v_cmp_gt_u32_e32 vcc_lo, 24, v5
	v_cmp_gt_u32_e64 s2, 32, v0
	s_mov_b64 s[12:13], 0
	v_mov_b32_e32 v15, 0
	v_dual_mov_b32 v16, 0 :: v_dual_lshlrev_b32 v3, 4, v1
	v_cndmask_b32_e64 v4, 0, 1, vcc_lo
	v_cmp_gt_u32_e32 vcc_lo, 28, v5
	v_mad_u64_u32 v[1:2], null, s22, v23, 0
	s_delay_alu instid0(VALU_DEP_4) | instskip(NEXT) | instid1(VALU_DEP_4)
	v_add_lshl_u32 v25, v3, v5, 2
	v_lshlrev_b32_e32 v9, 3, v4
	v_cndmask_b32_e64 v7, 0, 1, vcc_lo
	v_cmp_gt_u32_e32 vcc_lo, 30, v5
	s_waitcnt lgkmcnt(0)
	s_lshl_b32 s7, s6, 10
	v_mad_u64_u32 v[3:4], null, s23, v23, v[2:3]
	v_cndmask_b32_e64 v8, 0, 1, vcc_lo
	v_cmp_ne_u32_e32 vcc_lo, 31, v5
	v_lshlrev_b32_e32 v7, 2, v7
	s_add_u32 s4, s4, s10
	s_addc_u32 s5, s5, s11
	v_lshlrev_b32_e32 v8, 1, v8
	v_add_co_ci_u32_e32 v2, vcc_lo, 0, v5, vcc_lo
	v_add_lshl_u32 v27, v7, v5, 2
	v_lshrrev_b32_e32 v4, 1, v0
	s_delay_alu instid0(VALU_DEP_4) | instskip(NEXT) | instid1(VALU_DEP_4)
	v_add_lshl_u32 v28, v8, v5, 2
	v_dual_mov_b32 v2, v3 :: v_dual_lshlrev_b32 v29, 2, v2
	v_add_lshl_u32 v26, v9, v5, 2
	v_dual_mov_b32 v5, 0 :: v_dual_lshlrev_b32 v24, 4, v6
	v_cmp_ne_u32_e32 vcc_lo, 0, v0
	s_delay_alu instid0(VALU_DEP_4) | instskip(SKIP_4) | instid1(VALU_DEP_3)
	v_lshlrev_b64 v[1:2], 4, v[1:2]
	s_mul_hi_u32 s6, s22, s7
	v_cmp_eq_u32_e64 s3, 0, v6
	v_and_b32_e32 v30, 0x1f0, v4
	s_xor_b32 s9, vcc_lo, -1
                                        ; implicit-def: $vgpr9_vgpr10
	v_add_co_u32 v1, s4, s4, v1
	s_delay_alu instid0(VALU_DEP_1) | instskip(SKIP_1) | instid1(VALU_DEP_2)
	v_add_co_ci_u32_e64 v2, s4, s5, v2, s4
	s_mul_i32 s5, s23, s7
	v_add_co_u32 v17, s4, v1, 8
	s_delay_alu instid0(VALU_DEP_1) | instskip(SKIP_3) | instid1(SALU_CYCLE_1)
	v_add_co_ci_u32_e64 v18, s4, 0, v2, s4
	v_dual_mov_b32 v1, v15 :: v_dual_mov_b32 v2, v16
	s_add_i32 s5, s6, s5
	s_mul_i32 s4, s22, s7
	s_lshl_b64 s[10:11], s[4:5], 4
	s_branch .LBB19_4
.LBB19_2:                               ;   in Loop: Header=BB19_4 Depth=1
	s_or_b32 exec_lo, exec_lo, s6
	s_delay_alu instid0(VALU_DEP_1)
	v_dual_mov_b32 v1, v7 :: v_dual_mov_b32 v2, v8
	v_dual_mov_b32 v3, v11 :: v_dual_mov_b32 v4, v12
.LBB19_3:                               ;   in Loop: Header=BB19_4 Depth=1
	s_or_b32 exec_lo, exec_lo, s5
	s_add_u32 s12, s12, s7
	s_addc_u32 s13, s13, 0
	v_add_co_u32 v17, vcc_lo, v17, s10
	v_cmp_ge_i64_e64 s4, s[12:13], s[16:17]
	v_add_co_ci_u32_e32 v18, vcc_lo, s11, v18, vcc_lo
	s_delay_alu instid0(VALU_DEP_2)
	s_and_b32 vcc_lo, exec_lo, s4
	s_cbranch_vccnz .LBB19_54
.LBB19_4:                               ; =>This Inner Loop Header: Depth=1
	v_add_co_u32 v6, s4, v23, s12
	s_delay_alu instid0(VALU_DEP_1) | instskip(SKIP_2) | instid1(VALU_DEP_2)
	v_add_co_ci_u32_e64 v7, null, 0, s13, s4
	v_dual_mov_b32 v11, v15 :: v_dual_mov_b32 v12, v16
	s_mov_b32 s4, exec_lo
	v_cmpx_gt_i64_e64 s[16:17], v[6:7]
	s_cbranch_execz .LBB19_6
; %bb.5:                                ;   in Loop: Header=BB19_4 Depth=1
	global_load_b128 v[8:11], v[17:18], off offset:-8
	s_waitcnt vmcnt(0)
	v_cmp_gt_f64_e32 vcc_lo, 0, v[8:9]
	v_xor_b32_e32 v12, 0x80000000, v9
	v_xor_b32_e32 v13, 0x80000000, v11
	s_delay_alu instid0(VALU_DEP_2) | instskip(SKIP_1) | instid1(VALU_DEP_3)
	v_cndmask_b32_e32 v9, v9, v12, vcc_lo
	v_cmp_gt_f64_e32 vcc_lo, 0, v[10:11]
	v_cndmask_b32_e32 v11, v11, v13, vcc_lo
	s_delay_alu instid0(VALU_DEP_1)
	v_add_f64 v[9:10], v[8:9], v[10:11]
	v_add_co_u32 v11, vcc_lo, v6, 1
	v_add_co_ci_u32_e32 v12, vcc_lo, 0, v7, vcc_lo
.LBB19_6:                               ;   in Loop: Header=BB19_4 Depth=1
	s_or_b32 exec_lo, exec_lo, s4
	s_and_saveexec_b32 s4, s2
	s_cbranch_execz .LBB19_8
; %bb.7:                                ;   in Loop: Header=BB19_4 Depth=1
	v_mov_b32_e32 v6, v5
	v_mov_b32_e32 v7, v5
	;; [unrolled: 1-line block ×3, first 2 shown]
	ds_store_b128 v24, v[5:8]
.LBB19_8:                               ;   in Loop: Header=BB19_4 Depth=1
	s_or_b32 exec_lo, exec_lo, s4
	ds_bpermute_b32 v6, v25, v11
	ds_bpermute_b32 v7, v25, v12
	;; [unrolled: 1-line block ×4, first 2 shown]
	v_dual_mov_b32 v14, v10 :: v_dual_mov_b32 v13, v9
	s_mov_b32 s5, exec_lo
	s_waitcnt lgkmcnt(0)
	s_barrier
	buffer_gl0_inv
	v_cmpx_ne_u64_e32 0, v[6:7]
	s_cbranch_execz .LBB19_12
; %bb.9:                                ;   in Loop: Header=BB19_4 Depth=1
	v_cmp_ngt_f64_e32 vcc_lo, v[9:10], v[19:20]
	v_cmp_ne_u64_e64 s4, 0, v[11:12]
	v_dual_mov_b32 v13, v19 :: v_dual_mov_b32 v14, v20
	s_delay_alu instid0(VALU_DEP_2) | instskip(NEXT) | instid1(SALU_CYCLE_1)
	s_and_b32 s4, s4, vcc_lo
	s_and_saveexec_b32 s6, s4
; %bb.10:                               ;   in Loop: Header=BB19_4 Depth=1
	v_cmp_eq_f64_e64 s4, v[9:10], v[19:20]
	v_cmp_lt_i64_e32 vcc_lo, v[6:7], v[11:12]
	v_dual_mov_b32 v19, v9 :: v_dual_mov_b32 v20, v10
	v_dual_mov_b32 v14, v10 :: v_dual_cndmask_b32 v7, v12, v7
	s_delay_alu instid0(VALU_DEP_4) | instskip(SKIP_1) | instid1(VALU_DEP_2)
	s_and_b32 vcc_lo, s4, vcc_lo
	v_dual_mov_b32 v13, v9 :: v_dual_cndmask_b32 v6, v11, v6
	v_cndmask_b32_e64 v7, v12, v7, s4
; %bb.11:                               ;   in Loop: Header=BB19_4 Depth=1
	s_or_b32 exec_lo, exec_lo, s6
	v_dual_mov_b32 v10, v20 :: v_dual_mov_b32 v9, v19
	s_delay_alu instid0(VALU_DEP_2)
	v_dual_mov_b32 v12, v7 :: v_dual_mov_b32 v11, v6
.LBB19_12:                              ;   in Loop: Header=BB19_4 Depth=1
	s_or_b32 exec_lo, exec_lo, s5
	ds_bpermute_b32 v6, v26, v11
	ds_bpermute_b32 v7, v26, v12
	;; [unrolled: 1-line block ×4, first 2 shown]
	s_mov_b32 s5, exec_lo
	s_waitcnt lgkmcnt(2)
	v_cmpx_ne_u64_e32 0, v[6:7]
	s_cbranch_execz .LBB19_16
; %bb.13:                               ;   in Loop: Header=BB19_4 Depth=1
	s_waitcnt lgkmcnt(0)
	v_cmp_ngt_f64_e32 vcc_lo, v[13:14], v[19:20]
	v_cmp_ne_u64_e64 s4, 0, v[11:12]
	v_dual_mov_b32 v22, v20 :: v_dual_mov_b32 v21, v19
	s_delay_alu instid0(VALU_DEP_2) | instskip(NEXT) | instid1(SALU_CYCLE_1)
	s_and_b32 s4, s4, vcc_lo
	s_and_saveexec_b32 s6, s4
; %bb.14:                               ;   in Loop: Header=BB19_4 Depth=1
	v_cmp_eq_f64_e64 s4, v[13:14], v[19:20]
	v_cmp_lt_i64_e32 vcc_lo, v[6:7], v[11:12]
	v_dual_mov_b32 v19, v9 :: v_dual_mov_b32 v20, v10
	v_dual_mov_b32 v22, v14 :: v_dual_cndmask_b32 v7, v12, v7
	s_delay_alu instid0(VALU_DEP_4) | instskip(SKIP_1) | instid1(VALU_DEP_2)
	s_and_b32 vcc_lo, s4, vcc_lo
	v_dual_mov_b32 v21, v13 :: v_dual_cndmask_b32 v6, v11, v6
	v_cndmask_b32_e64 v7, v12, v7, s4
; %bb.15:                               ;   in Loop: Header=BB19_4 Depth=1
	s_or_b32 exec_lo, exec_lo, s6
	v_dual_mov_b32 v10, v20 :: v_dual_mov_b32 v9, v19
	s_delay_alu instid0(VALU_DEP_2)
	v_dual_mov_b32 v12, v7 :: v_dual_mov_b32 v11, v6
	v_dual_mov_b32 v13, v21 :: v_dual_mov_b32 v14, v22
.LBB19_16:                              ;   in Loop: Header=BB19_4 Depth=1
	s_or_b32 exec_lo, exec_lo, s5
	ds_bpermute_b32 v6, v27, v11
	ds_bpermute_b32 v7, v27, v12
	s_waitcnt lgkmcnt(3)
	ds_bpermute_b32 v19, v27, v9
	s_waitcnt lgkmcnt(3)
	ds_bpermute_b32 v20, v27, v10
	s_mov_b32 s5, exec_lo
	s_waitcnt lgkmcnt(2)
	v_cmpx_ne_u64_e32 0, v[6:7]
	s_cbranch_execz .LBB19_20
; %bb.17:                               ;   in Loop: Header=BB19_4 Depth=1
	s_waitcnt lgkmcnt(0)
	v_cmp_ngt_f64_e32 vcc_lo, v[13:14], v[19:20]
	v_cmp_ne_u64_e64 s4, 0, v[11:12]
	v_dual_mov_b32 v22, v20 :: v_dual_mov_b32 v21, v19
	s_delay_alu instid0(VALU_DEP_2) | instskip(NEXT) | instid1(SALU_CYCLE_1)
	s_and_b32 s4, s4, vcc_lo
	s_and_saveexec_b32 s6, s4
; %bb.18:                               ;   in Loop: Header=BB19_4 Depth=1
	v_cmp_eq_f64_e64 s4, v[13:14], v[19:20]
	v_cmp_lt_i64_e32 vcc_lo, v[6:7], v[11:12]
	v_dual_mov_b32 v19, v9 :: v_dual_mov_b32 v20, v10
	v_dual_mov_b32 v22, v14 :: v_dual_cndmask_b32 v7, v12, v7
	s_delay_alu instid0(VALU_DEP_4) | instskip(SKIP_1) | instid1(VALU_DEP_2)
	s_and_b32 vcc_lo, s4, vcc_lo
	v_dual_mov_b32 v21, v13 :: v_dual_cndmask_b32 v6, v11, v6
	v_cndmask_b32_e64 v7, v12, v7, s4
; %bb.19:                               ;   in Loop: Header=BB19_4 Depth=1
	s_or_b32 exec_lo, exec_lo, s6
	v_dual_mov_b32 v10, v20 :: v_dual_mov_b32 v9, v19
	s_delay_alu instid0(VALU_DEP_2)
	v_dual_mov_b32 v12, v7 :: v_dual_mov_b32 v11, v6
	v_dual_mov_b32 v13, v21 :: v_dual_mov_b32 v14, v22
.LBB19_20:                              ;   in Loop: Header=BB19_4 Depth=1
	s_or_b32 exec_lo, exec_lo, s5
	ds_bpermute_b32 v6, v28, v11
	ds_bpermute_b32 v7, v28, v12
	s_waitcnt lgkmcnt(3)
	ds_bpermute_b32 v19, v28, v9
	s_waitcnt lgkmcnt(3)
	ds_bpermute_b32 v20, v28, v10
	s_mov_b32 s5, exec_lo
	s_waitcnt lgkmcnt(2)
	v_cmpx_ne_u64_e32 0, v[6:7]
	s_cbranch_execz .LBB19_24
; %bb.21:                               ;   in Loop: Header=BB19_4 Depth=1
	s_waitcnt lgkmcnt(0)
	v_cmp_ngt_f64_e32 vcc_lo, v[13:14], v[19:20]
	v_cmp_ne_u64_e64 s4, 0, v[11:12]
	v_dual_mov_b32 v22, v20 :: v_dual_mov_b32 v21, v19
	s_delay_alu instid0(VALU_DEP_2) | instskip(NEXT) | instid1(SALU_CYCLE_1)
	s_and_b32 s4, s4, vcc_lo
	s_and_saveexec_b32 s6, s4
; %bb.22:                               ;   in Loop: Header=BB19_4 Depth=1
	v_cmp_eq_f64_e64 s4, v[13:14], v[19:20]
	v_cmp_lt_i64_e32 vcc_lo, v[6:7], v[11:12]
	v_dual_mov_b32 v19, v9 :: v_dual_mov_b32 v20, v10
	v_dual_mov_b32 v22, v14 :: v_dual_cndmask_b32 v7, v12, v7
	s_delay_alu instid0(VALU_DEP_4) | instskip(SKIP_1) | instid1(VALU_DEP_2)
	s_and_b32 vcc_lo, s4, vcc_lo
	v_dual_mov_b32 v21, v13 :: v_dual_cndmask_b32 v6, v11, v6
	v_cndmask_b32_e64 v7, v12, v7, s4
; %bb.23:                               ;   in Loop: Header=BB19_4 Depth=1
	s_or_b32 exec_lo, exec_lo, s6
	v_dual_mov_b32 v10, v20 :: v_dual_mov_b32 v9, v19
	s_delay_alu instid0(VALU_DEP_2)
	v_dual_mov_b32 v12, v7 :: v_dual_mov_b32 v11, v6
	v_dual_mov_b32 v13, v21 :: v_dual_mov_b32 v14, v22
.LBB19_24:                              ;   in Loop: Header=BB19_4 Depth=1
	s_or_b32 exec_lo, exec_lo, s5
	s_waitcnt lgkmcnt(1)
	ds_bpermute_b32 v19, v29, v11
	s_waitcnt lgkmcnt(1)
	ds_bpermute_b32 v20, v29, v12
	ds_bpermute_b32 v6, v29, v9
	;; [unrolled: 1-line block ×3, first 2 shown]
	s_mov_b32 s15, exec_lo
	s_waitcnt lgkmcnt(2)
	v_cmpx_ne_u64_e32 0, v[19:20]
	s_cbranch_execz .LBB19_26
; %bb.25:                               ;   in Loop: Header=BB19_4 Depth=1
	s_waitcnt lgkmcnt(0)
	v_cmp_eq_f64_e32 vcc_lo, v[13:14], v[6:7]
	v_cmp_gt_f64_e64 s4, v[13:14], v[6:7]
	v_cmp_lt_i64_e64 s5, v[19:20], v[11:12]
	v_cmp_eq_u64_e64 s6, 0, v[11:12]
	s_delay_alu instid0(VALU_DEP_2) | instskip(NEXT) | instid1(VALU_DEP_1)
	s_and_b32 vcc_lo, vcc_lo, s5
	s_or_b32 s4, s6, s4
	v_cndmask_b32_e32 v8, v12, v20, vcc_lo
	s_or_b32 vcc_lo, s4, vcc_lo
	v_cndmask_b32_e64 v14, v14, v7, s4
	v_cndmask_b32_e32 v11, v11, v19, vcc_lo
	v_cndmask_b32_e64 v13, v13, v6, s4
	v_cndmask_b32_e64 v12, v8, v20, s4
.LBB19_26:                              ;   in Loop: Header=BB19_4 Depth=1
	s_or_b32 exec_lo, exec_lo, s15
	s_and_saveexec_b32 s4, s3
	s_cbranch_execz .LBB19_28
; %bb.27:                               ;   in Loop: Header=BB19_4 Depth=1
	ds_store_b128 v30, v[11:14]
.LBB19_28:                              ;   in Loop: Header=BB19_4 Depth=1
	s_or_b32 exec_lo, exec_lo, s4
	s_waitcnt lgkmcnt(0)
	v_mov_b32_e32 v7, 0
	v_dual_mov_b32 v8, 0 :: v_dual_mov_b32 v9, 0
	v_mov_b32_e32 v10, 0
	s_barrier
	buffer_gl0_inv
	s_and_saveexec_b32 s4, s2
	s_cbranch_execz .LBB19_30
; %bb.29:                               ;   in Loop: Header=BB19_4 Depth=1
	ds_load_b128 v[7:10], v24
.LBB19_30:                              ;   in Loop: Header=BB19_4 Depth=1
	s_or_b32 exec_lo, exec_lo, s4
	s_and_saveexec_b32 s15, s2
	s_cbranch_execz .LBB19_50
; %bb.31:                               ;   in Loop: Header=BB19_4 Depth=1
	s_waitcnt lgkmcnt(0)
	ds_bpermute_b32 v13, v25, v7
	ds_bpermute_b32 v14, v25, v8
	;; [unrolled: 1-line block ×4, first 2 shown]
	v_dual_mov_b32 v12, v10 :: v_dual_mov_b32 v11, v9
	s_mov_b32 s5, exec_lo
	s_waitcnt lgkmcnt(2)
	v_cmpx_ne_u64_e32 0, v[13:14]
	s_cbranch_execz .LBB19_35
; %bb.32:                               ;   in Loop: Header=BB19_4 Depth=1
	s_waitcnt lgkmcnt(0)
	v_cmp_ngt_f64_e32 vcc_lo, v[9:10], v[19:20]
	v_cmp_ne_u64_e64 s4, 0, v[7:8]
	v_dual_mov_b32 v11, v19 :: v_dual_mov_b32 v12, v20
	s_delay_alu instid0(VALU_DEP_2) | instskip(NEXT) | instid1(SALU_CYCLE_1)
	s_and_b32 s4, s4, vcc_lo
	s_and_saveexec_b32 s6, s4
; %bb.33:                               ;   in Loop: Header=BB19_4 Depth=1
	v_cmp_eq_f64_e64 s4, v[9:10], v[19:20]
	v_cmp_lt_i64_e32 vcc_lo, v[13:14], v[7:8]
	v_dual_mov_b32 v12, v10 :: v_dual_mov_b32 v19, v9
	v_dual_mov_b32 v11, v9 :: v_dual_mov_b32 v20, v10
	v_cndmask_b32_e32 v6, v8, v14, vcc_lo
	s_and_b32 vcc_lo, s4, vcc_lo
	s_delay_alu instid0(VALU_DEP_1)
	v_cndmask_b32_e64 v14, v8, v6, s4
	v_cndmask_b32_e32 v13, v7, v13, vcc_lo
; %bb.34:                               ;   in Loop: Header=BB19_4 Depth=1
	s_or_b32 exec_lo, exec_lo, s6
	v_dual_mov_b32 v10, v20 :: v_dual_mov_b32 v9, v19
	s_delay_alu instid0(VALU_DEP_2)
	v_dual_mov_b32 v7, v13 :: v_dual_mov_b32 v8, v14
.LBB19_35:                              ;   in Loop: Header=BB19_4 Depth=1
	s_or_b32 exec_lo, exec_lo, s5
	ds_bpermute_b32 v13, v26, v7
	ds_bpermute_b32 v14, v26, v8
	s_waitcnt lgkmcnt(3)
	ds_bpermute_b32 v19, v26, v9
	s_waitcnt lgkmcnt(3)
	ds_bpermute_b32 v20, v26, v10
	s_mov_b32 s5, exec_lo
	s_waitcnt lgkmcnt(2)
	v_cmpx_ne_u64_e32 0, v[13:14]
	s_cbranch_execz .LBB19_39
; %bb.36:                               ;   in Loop: Header=BB19_4 Depth=1
	s_waitcnt lgkmcnt(0)
	v_cmp_ngt_f64_e32 vcc_lo, v[11:12], v[19:20]
	v_cmp_ne_u64_e64 s4, 0, v[7:8]
	v_dual_mov_b32 v22, v20 :: v_dual_mov_b32 v21, v19
	s_delay_alu instid0(VALU_DEP_2) | instskip(NEXT) | instid1(SALU_CYCLE_1)
	s_and_b32 s4, s4, vcc_lo
	s_and_saveexec_b32 s6, s4
; %bb.37:                               ;   in Loop: Header=BB19_4 Depth=1
	v_cmp_eq_f64_e64 s4, v[11:12], v[19:20]
	v_cmp_lt_i64_e32 vcc_lo, v[13:14], v[7:8]
	v_dual_mov_b32 v22, v12 :: v_dual_mov_b32 v19, v9
	v_dual_mov_b32 v21, v11 :: v_dual_mov_b32 v20, v10
	v_cndmask_b32_e32 v6, v8, v14, vcc_lo
	s_and_b32 vcc_lo, s4, vcc_lo
	s_delay_alu instid0(VALU_DEP_1)
	v_cndmask_b32_e64 v14, v8, v6, s4
	v_cndmask_b32_e32 v13, v7, v13, vcc_lo
; %bb.38:                               ;   in Loop: Header=BB19_4 Depth=1
	s_or_b32 exec_lo, exec_lo, s6
	v_dual_mov_b32 v10, v20 :: v_dual_mov_b32 v9, v19
	s_delay_alu instid0(VALU_DEP_2)
	v_dual_mov_b32 v7, v13 :: v_dual_mov_b32 v8, v14
	v_dual_mov_b32 v11, v21 :: v_dual_mov_b32 v12, v22
.LBB19_39:                              ;   in Loop: Header=BB19_4 Depth=1
	s_or_b32 exec_lo, exec_lo, s5
	ds_bpermute_b32 v13, v27, v7
	ds_bpermute_b32 v14, v27, v8
	s_waitcnt lgkmcnt(3)
	ds_bpermute_b32 v19, v27, v9
	s_waitcnt lgkmcnt(3)
	ds_bpermute_b32 v20, v27, v10
	s_mov_b32 s5, exec_lo
	s_waitcnt lgkmcnt(2)
	v_cmpx_ne_u64_e32 0, v[13:14]
	s_cbranch_execz .LBB19_43
; %bb.40:                               ;   in Loop: Header=BB19_4 Depth=1
	s_waitcnt lgkmcnt(0)
	v_cmp_ngt_f64_e32 vcc_lo, v[11:12], v[19:20]
	v_cmp_ne_u64_e64 s4, 0, v[7:8]
	v_dual_mov_b32 v22, v20 :: v_dual_mov_b32 v21, v19
	s_delay_alu instid0(VALU_DEP_2) | instskip(NEXT) | instid1(SALU_CYCLE_1)
	s_and_b32 s4, s4, vcc_lo
	s_and_saveexec_b32 s6, s4
; %bb.41:                               ;   in Loop: Header=BB19_4 Depth=1
	v_cmp_eq_f64_e64 s4, v[11:12], v[19:20]
	v_cmp_lt_i64_e32 vcc_lo, v[13:14], v[7:8]
	v_dual_mov_b32 v22, v12 :: v_dual_mov_b32 v19, v9
	v_dual_mov_b32 v21, v11 :: v_dual_mov_b32 v20, v10
	v_cndmask_b32_e32 v6, v8, v14, vcc_lo
	s_and_b32 vcc_lo, s4, vcc_lo
	s_delay_alu instid0(VALU_DEP_1)
	v_cndmask_b32_e64 v14, v8, v6, s4
	v_cndmask_b32_e32 v13, v7, v13, vcc_lo
; %bb.42:                               ;   in Loop: Header=BB19_4 Depth=1
	s_or_b32 exec_lo, exec_lo, s6
	v_dual_mov_b32 v10, v20 :: v_dual_mov_b32 v9, v19
	s_delay_alu instid0(VALU_DEP_2)
	v_dual_mov_b32 v7, v13 :: v_dual_mov_b32 v8, v14
	v_dual_mov_b32 v11, v21 :: v_dual_mov_b32 v12, v22
.LBB19_43:                              ;   in Loop: Header=BB19_4 Depth=1
	;; [unrolled: 36-line block ×3, first 2 shown]
	s_or_b32 exec_lo, exec_lo, s5
	ds_bpermute_b32 v13, v29, v7
	ds_bpermute_b32 v14, v29, v8
	;; [unrolled: 1-line block ×4, first 2 shown]
	s_mov_b32 s18, exec_lo
	s_waitcnt lgkmcnt(2)
	v_cmpx_ne_u64_e32 0, v[13:14]
	s_cbranch_execz .LBB19_49
; %bb.48:                               ;   in Loop: Header=BB19_4 Depth=1
	s_waitcnt lgkmcnt(0)
	v_cmp_eq_f64_e32 vcc_lo, v[11:12], v[9:10]
	v_cmp_gt_f64_e64 s4, v[11:12], v[9:10]
	v_cmp_lt_i64_e64 s5, v[13:14], v[7:8]
	v_cmp_eq_u64_e64 s6, 0, v[7:8]
	s_delay_alu instid0(VALU_DEP_2) | instskip(NEXT) | instid1(VALU_DEP_1)
	s_and_b32 vcc_lo, vcc_lo, s5
	s_or_b32 s4, s6, s4
	v_cndmask_b32_e32 v6, v8, v14, vcc_lo
	s_or_b32 vcc_lo, s4, vcc_lo
	v_cndmask_b32_e64 v12, v12, v10, s4
	v_cndmask_b32_e32 v7, v7, v13, vcc_lo
	v_cndmask_b32_e64 v11, v11, v9, s4
	v_cndmask_b32_e64 v8, v6, v14, s4
.LBB19_49:                              ;   in Loop: Header=BB19_4 Depth=1
	s_or_b32 exec_lo, exec_lo, s18
	s_waitcnt lgkmcnt(0)
	s_delay_alu instid0(VALU_DEP_2)
	v_dual_mov_b32 v9, v11 :: v_dual_mov_b32 v10, v12
.LBB19_50:                              ;   in Loop: Header=BB19_4 Depth=1
	s_or_b32 exec_lo, exec_lo, s15
	s_waitcnt lgkmcnt(0)
	v_cmp_ne_u64_e32 vcc_lo, 0, v[7:8]
	s_and_b32 s4, s9, vcc_lo
	s_delay_alu instid0(SALU_CYCLE_1)
	s_and_saveexec_b32 s5, s4
	s_cbranch_execz .LBB19_3
; %bb.51:                               ;   in Loop: Header=BB19_4 Depth=1
	v_cmp_nlt_f64_e32 vcc_lo, v[9:10], v[3:4]
	v_cmp_ne_u64_e64 s4, 0, v[1:2]
	v_dual_mov_b32 v12, v10 :: v_dual_mov_b32 v11, v9
	s_delay_alu instid0(VALU_DEP_2) | instskip(NEXT) | instid1(SALU_CYCLE_1)
	s_and_b32 s4, s4, vcc_lo
	s_and_saveexec_b32 s6, s4
	s_cbranch_execz .LBB19_2
; %bb.52:                               ;   in Loop: Header=BB19_4 Depth=1
	v_cmp_eq_f64_e64 s4, v[3:4], v[9:10]
	v_cmp_lt_i64_e32 vcc_lo, v[7:8], v[1:2]
	v_dual_mov_b32 v12, v4 :: v_dual_mov_b32 v11, v3
	v_cndmask_b32_e32 v6, v2, v8, vcc_lo
	s_delay_alu instid0(VALU_DEP_4) | instskip(SKIP_1) | instid1(VALU_DEP_2)
	s_and_b32 vcc_lo, s4, vcc_lo
	v_cndmask_b32_e32 v7, v1, v7, vcc_lo
	v_cndmask_b32_e64 v8, v2, v6, s4
	s_branch .LBB19_2
.LBB19_53:
	v_mov_b32_e32 v1, 0
	v_mov_b32_e32 v2, 0
.LBB19_54:
	s_mov_b32 s15, 0
	s_mov_b32 s2, exec_lo
	v_cmpx_eq_u32_e32 0, v0
	s_cbranch_execz .LBB19_56
; %bb.55:
	s_clause 0x1
	s_load_b32 s2, s[0:1], 0x30
	s_load_b64 s[0:1], s[0:1], 0x28
	v_mov_b32_e32 v0, 0
	s_waitcnt lgkmcnt(0)
	s_mul_hi_u32 s3, s2, s8
	s_mul_i32 s2, s2, s8
	s_delay_alu instid0(SALU_CYCLE_1) | instskip(NEXT) | instid1(SALU_CYCLE_1)
	s_lshl_b64 s[2:3], s[2:3], 4
	s_add_u32 s2, s0, s2
	s_addc_u32 s3, s1, s3
	s_lshl_b64 s[0:1], s[14:15], 4
	s_delay_alu instid0(SALU_CYCLE_1)
	s_add_u32 s0, s2, s0
	s_addc_u32 s1, s3, s1
	global_store_b128 v0, v[1:4], s[0:1]
.LBB19_56:
	s_nop 0
	s_sendmsg sendmsg(MSG_DEALLOC_VGPRS)
	s_endpgm
	.section	.rodata,"a",@progbits
	.p2align	6, 0x0
	.amdhsa_kernel _ZL35rocblas_iamax_iamin_kernel_part1_64ILi1024E26rocblas_fetch_amax_amin_64IdE22rocblas_reduce_amin_64PKPK19rocblas_complex_numIdE24rocblas_index_64_value_tIdEEvlT2_lllPT3_
		.amdhsa_group_segment_fixed_size 512
		.amdhsa_private_segment_fixed_size 0
		.amdhsa_kernarg_size 304
		.amdhsa_user_sgpr_count 14
		.amdhsa_user_sgpr_dispatch_ptr 0
		.amdhsa_user_sgpr_queue_ptr 0
		.amdhsa_user_sgpr_kernarg_segment_ptr 1
		.amdhsa_user_sgpr_dispatch_id 0
		.amdhsa_user_sgpr_private_segment_size 0
		.amdhsa_wavefront_size32 1
		.amdhsa_uses_dynamic_stack 0
		.amdhsa_enable_private_segment 0
		.amdhsa_system_sgpr_workgroup_id_x 1
		.amdhsa_system_sgpr_workgroup_id_y 0
		.amdhsa_system_sgpr_workgroup_id_z 1
		.amdhsa_system_sgpr_workgroup_info 0
		.amdhsa_system_vgpr_workitem_id 0
		.amdhsa_next_free_vgpr 31
		.amdhsa_next_free_sgpr 24
		.amdhsa_reserve_vcc 1
		.amdhsa_float_round_mode_32 0
		.amdhsa_float_round_mode_16_64 0
		.amdhsa_float_denorm_mode_32 3
		.amdhsa_float_denorm_mode_16_64 3
		.amdhsa_dx10_clamp 1
		.amdhsa_ieee_mode 1
		.amdhsa_fp16_overflow 0
		.amdhsa_workgroup_processor_mode 1
		.amdhsa_memory_ordered 1
		.amdhsa_forward_progress 0
		.amdhsa_shared_vgpr_count 0
		.amdhsa_exception_fp_ieee_invalid_op 0
		.amdhsa_exception_fp_denorm_src 0
		.amdhsa_exception_fp_ieee_div_zero 0
		.amdhsa_exception_fp_ieee_overflow 0
		.amdhsa_exception_fp_ieee_underflow 0
		.amdhsa_exception_fp_ieee_inexact 0
		.amdhsa_exception_int_div_zero 0
	.end_amdhsa_kernel
	.section	.text._ZL35rocblas_iamax_iamin_kernel_part1_64ILi1024E26rocblas_fetch_amax_amin_64IdE22rocblas_reduce_amin_64PKPK19rocblas_complex_numIdE24rocblas_index_64_value_tIdEEvlT2_lllPT3_,"axG",@progbits,_ZL35rocblas_iamax_iamin_kernel_part1_64ILi1024E26rocblas_fetch_amax_amin_64IdE22rocblas_reduce_amin_64PKPK19rocblas_complex_numIdE24rocblas_index_64_value_tIdEEvlT2_lllPT3_,comdat
.Lfunc_end19:
	.size	_ZL35rocblas_iamax_iamin_kernel_part1_64ILi1024E26rocblas_fetch_amax_amin_64IdE22rocblas_reduce_amin_64PKPK19rocblas_complex_numIdE24rocblas_index_64_value_tIdEEvlT2_lllPT3_, .Lfunc_end19-_ZL35rocblas_iamax_iamin_kernel_part1_64ILi1024E26rocblas_fetch_amax_amin_64IdE22rocblas_reduce_amin_64PKPK19rocblas_complex_numIdE24rocblas_index_64_value_tIdEEvlT2_lllPT3_
                                        ; -- End function
	.section	.AMDGPU.csdata,"",@progbits
; Kernel info:
; codeLenInByte = 2624
; NumSgprs: 26
; NumVgprs: 31
; ScratchSize: 0
; MemoryBound: 0
; FloatMode: 240
; IeeeMode: 1
; LDSByteSize: 512 bytes/workgroup (compile time only)
; SGPRBlocks: 3
; VGPRBlocks: 3
; NumSGPRsForWavesPerEU: 26
; NumVGPRsForWavesPerEU: 31
; Occupancy: 16
; WaveLimiterHint : 0
; COMPUTE_PGM_RSRC2:SCRATCH_EN: 0
; COMPUTE_PGM_RSRC2:USER_SGPR: 14
; COMPUTE_PGM_RSRC2:TRAP_HANDLER: 0
; COMPUTE_PGM_RSRC2:TGID_X_EN: 1
; COMPUTE_PGM_RSRC2:TGID_Y_EN: 0
; COMPUTE_PGM_RSRC2:TGID_Z_EN: 1
; COMPUTE_PGM_RSRC2:TIDIG_COMP_CNT: 0
	.text
	.p2alignl 7, 3214868480
	.fill 96, 4, 3214868480
	.type	__hip_cuid_1fe9e7098710a492,@object ; @__hip_cuid_1fe9e7098710a492
	.section	.bss,"aw",@nobits
	.globl	__hip_cuid_1fe9e7098710a492
__hip_cuid_1fe9e7098710a492:
	.byte	0                               ; 0x0
	.size	__hip_cuid_1fe9e7098710a492, 1

	.ident	"AMD clang version 19.0.0git (https://github.com/RadeonOpenCompute/llvm-project roc-6.4.0 25133 c7fe45cf4b819c5991fe208aaa96edf142730f1d)"
	.section	".note.GNU-stack","",@progbits
	.addrsig
	.addrsig_sym __hip_cuid_1fe9e7098710a492
	.amdgpu_metadata
---
amdhsa.kernels:
  - .args:
      - .offset:         0
        .size:           8
        .value_kind:     by_value
      - .address_space:  global
        .offset:         8
        .size:           8
        .value_kind:     global_buffer
      - .offset:         16
        .size:           8
        .value_kind:     by_value
      - .offset:         24
        .size:           8
        .value_kind:     by_value
      - .offset:         32
        .size:           8
        .value_kind:     by_value
      - .address_space:  global
        .offset:         40
        .size:           8
        .value_kind:     global_buffer
      - .offset:         48
        .size:           4
        .value_kind:     hidden_block_count_x
      - .offset:         52
        .size:           4
        .value_kind:     hidden_block_count_y
      - .offset:         56
        .size:           4
        .value_kind:     hidden_block_count_z
      - .offset:         60
        .size:           2
        .value_kind:     hidden_group_size_x
      - .offset:         62
        .size:           2
        .value_kind:     hidden_group_size_y
      - .offset:         64
        .size:           2
        .value_kind:     hidden_group_size_z
      - .offset:         66
        .size:           2
        .value_kind:     hidden_remainder_x
      - .offset:         68
        .size:           2
        .value_kind:     hidden_remainder_y
      - .offset:         70
        .size:           2
        .value_kind:     hidden_remainder_z
      - .offset:         88
        .size:           8
        .value_kind:     hidden_global_offset_x
      - .offset:         96
        .size:           8
        .value_kind:     hidden_global_offset_y
      - .offset:         104
        .size:           8
        .value_kind:     hidden_global_offset_z
      - .offset:         112
        .size:           2
        .value_kind:     hidden_grid_dims
    .group_segment_fixed_size: 512
    .kernarg_segment_align: 8
    .kernarg_segment_size: 304
    .language:       OpenCL C
    .language_version:
      - 2
      - 0
    .max_flat_workgroup_size: 1024
    .name:           _ZL35rocblas_iamax_iamin_kernel_part1_64ILi1024E26rocblas_fetch_amax_amin_64IfE22rocblas_reduce_amax_64PKf24rocblas_index_64_value_tIfEEvlT2_lllPT3_
    .private_segment_fixed_size: 0
    .sgpr_count:     26
    .sgpr_spill_count: 0
    .symbol:         _ZL35rocblas_iamax_iamin_kernel_part1_64ILi1024E26rocblas_fetch_amax_amin_64IfE22rocblas_reduce_amax_64PKf24rocblas_index_64_value_tIfEEvlT2_lllPT3_.kd
    .uniform_work_group_size: 1
    .uses_dynamic_stack: false
    .vgpr_count:     25
    .vgpr_spill_count: 0
    .wavefront_size: 32
    .workgroup_processor_mode: 1
  - .args:
      - .offset:         0
        .size:           4
        .value_kind:     by_value
      - .address_space:  global
        .offset:         8
        .size:           8
        .value_kind:     global_buffer
      - .address_space:  global
        .offset:         16
        .size:           8
        .value_kind:     global_buffer
    .group_segment_fixed_size: 512
    .kernarg_segment_align: 8
    .kernarg_segment_size: 24
    .language:       OpenCL C
    .language_version:
      - 2
      - 0
    .max_flat_workgroup_size: 1024
    .name:           _ZL35rocblas_iamax_iamin_kernel_part2_64ILi1024E22rocblas_reduce_amax_6424rocblas_index_64_value_tIfElEviPT1_PT2_
    .private_segment_fixed_size: 0
    .sgpr_count:     18
    .sgpr_spill_count: 0
    .symbol:         _ZL35rocblas_iamax_iamin_kernel_part2_64ILi1024E22rocblas_reduce_amax_6424rocblas_index_64_value_tIfElEviPT1_PT2_.kd
    .uniform_work_group_size: 1
    .uses_dynamic_stack: false
    .vgpr_count:     16
    .vgpr_spill_count: 0
    .wavefront_size: 32
    .workgroup_processor_mode: 1
  - .args:
      - .offset:         0
        .size:           8
        .value_kind:     by_value
      - .address_space:  global
        .offset:         8
        .size:           8
        .value_kind:     global_buffer
      - .offset:         16
        .size:           8
        .value_kind:     by_value
      - .offset:         24
        .size:           8
        .value_kind:     by_value
      - .offset:         32
        .size:           8
        .value_kind:     by_value
      - .address_space:  global
        .offset:         40
        .size:           8
        .value_kind:     global_buffer
      - .offset:         48
        .size:           4
        .value_kind:     hidden_block_count_x
      - .offset:         52
        .size:           4
        .value_kind:     hidden_block_count_y
      - .offset:         56
        .size:           4
        .value_kind:     hidden_block_count_z
      - .offset:         60
        .size:           2
        .value_kind:     hidden_group_size_x
      - .offset:         62
        .size:           2
        .value_kind:     hidden_group_size_y
      - .offset:         64
        .size:           2
        .value_kind:     hidden_group_size_z
      - .offset:         66
        .size:           2
        .value_kind:     hidden_remainder_x
      - .offset:         68
        .size:           2
        .value_kind:     hidden_remainder_y
      - .offset:         70
        .size:           2
        .value_kind:     hidden_remainder_z
      - .offset:         88
        .size:           8
        .value_kind:     hidden_global_offset_x
      - .offset:         96
        .size:           8
        .value_kind:     hidden_global_offset_y
      - .offset:         104
        .size:           8
        .value_kind:     hidden_global_offset_z
      - .offset:         112
        .size:           2
        .value_kind:     hidden_grid_dims
    .group_segment_fixed_size: 512
    .kernarg_segment_align: 8
    .kernarg_segment_size: 304
    .language:       OpenCL C
    .language_version:
      - 2
      - 0
    .max_flat_workgroup_size: 1024
    .name:           _ZL35rocblas_iamax_iamin_kernel_part1_64ILi1024E26rocblas_fetch_amax_amin_64IdE22rocblas_reduce_amax_64PKd24rocblas_index_64_value_tIdEEvlT2_lllPT3_
    .private_segment_fixed_size: 0
    .sgpr_count:     26
    .sgpr_spill_count: 0
    .symbol:         _ZL35rocblas_iamax_iamin_kernel_part1_64ILi1024E26rocblas_fetch_amax_amin_64IdE22rocblas_reduce_amax_64PKd24rocblas_index_64_value_tIdEEvlT2_lllPT3_.kd
    .uniform_work_group_size: 1
    .uses_dynamic_stack: false
    .vgpr_count:     31
    .vgpr_spill_count: 0
    .wavefront_size: 32
    .workgroup_processor_mode: 1
  - .args:
      - .offset:         0
        .size:           4
        .value_kind:     by_value
      - .address_space:  global
        .offset:         8
        .size:           8
        .value_kind:     global_buffer
      - .address_space:  global
        .offset:         16
        .size:           8
        .value_kind:     global_buffer
    .group_segment_fixed_size: 512
    .kernarg_segment_align: 8
    .kernarg_segment_size: 24
    .language:       OpenCL C
    .language_version:
      - 2
      - 0
    .max_flat_workgroup_size: 1024
    .name:           _ZL35rocblas_iamax_iamin_kernel_part2_64ILi1024E22rocblas_reduce_amax_6424rocblas_index_64_value_tIdElEviPT1_PT2_
    .private_segment_fixed_size: 0
    .sgpr_count:     18
    .sgpr_spill_count: 0
    .symbol:         _ZL35rocblas_iamax_iamin_kernel_part2_64ILi1024E22rocblas_reduce_amax_6424rocblas_index_64_value_tIdElEviPT1_PT2_.kd
    .uniform_work_group_size: 1
    .uses_dynamic_stack: false
    .vgpr_count:     20
    .vgpr_spill_count: 0
    .wavefront_size: 32
    .workgroup_processor_mode: 1
  - .args:
      - .offset:         0
        .size:           8
        .value_kind:     by_value
      - .address_space:  global
        .offset:         8
        .size:           8
        .value_kind:     global_buffer
      - .offset:         16
        .size:           8
        .value_kind:     by_value
      - .offset:         24
        .size:           8
        .value_kind:     by_value
      - .offset:         32
        .size:           8
        .value_kind:     by_value
      - .address_space:  global
        .offset:         40
        .size:           8
        .value_kind:     global_buffer
      - .offset:         48
        .size:           4
        .value_kind:     hidden_block_count_x
      - .offset:         52
        .size:           4
        .value_kind:     hidden_block_count_y
      - .offset:         56
        .size:           4
        .value_kind:     hidden_block_count_z
      - .offset:         60
        .size:           2
        .value_kind:     hidden_group_size_x
      - .offset:         62
        .size:           2
        .value_kind:     hidden_group_size_y
      - .offset:         64
        .size:           2
        .value_kind:     hidden_group_size_z
      - .offset:         66
        .size:           2
        .value_kind:     hidden_remainder_x
      - .offset:         68
        .size:           2
        .value_kind:     hidden_remainder_y
      - .offset:         70
        .size:           2
        .value_kind:     hidden_remainder_z
      - .offset:         88
        .size:           8
        .value_kind:     hidden_global_offset_x
      - .offset:         96
        .size:           8
        .value_kind:     hidden_global_offset_y
      - .offset:         104
        .size:           8
        .value_kind:     hidden_global_offset_z
      - .offset:         112
        .size:           2
        .value_kind:     hidden_grid_dims
    .group_segment_fixed_size: 512
    .kernarg_segment_align: 8
    .kernarg_segment_size: 304
    .language:       OpenCL C
    .language_version:
      - 2
      - 0
    .max_flat_workgroup_size: 1024
    .name:           _ZL35rocblas_iamax_iamin_kernel_part1_64ILi1024E26rocblas_fetch_amax_amin_64IfE22rocblas_reduce_amax_64PK19rocblas_complex_numIfE24rocblas_index_64_value_tIfEEvlT2_lllPT3_
    .private_segment_fixed_size: 0
    .sgpr_count:     26
    .sgpr_spill_count: 0
    .symbol:         _ZL35rocblas_iamax_iamin_kernel_part1_64ILi1024E26rocblas_fetch_amax_amin_64IfE22rocblas_reduce_amax_64PK19rocblas_complex_numIfE24rocblas_index_64_value_tIfEEvlT2_lllPT3_.kd
    .uniform_work_group_size: 1
    .uses_dynamic_stack: false
    .vgpr_count:     25
    .vgpr_spill_count: 0
    .wavefront_size: 32
    .workgroup_processor_mode: 1
  - .args:
      - .offset:         0
        .size:           8
        .value_kind:     by_value
      - .address_space:  global
        .offset:         8
        .size:           8
        .value_kind:     global_buffer
      - .offset:         16
        .size:           8
        .value_kind:     by_value
      - .offset:         24
        .size:           8
        .value_kind:     by_value
      - .offset:         32
        .size:           8
        .value_kind:     by_value
      - .address_space:  global
        .offset:         40
        .size:           8
        .value_kind:     global_buffer
      - .offset:         48
        .size:           4
        .value_kind:     hidden_block_count_x
      - .offset:         52
        .size:           4
        .value_kind:     hidden_block_count_y
      - .offset:         56
        .size:           4
        .value_kind:     hidden_block_count_z
      - .offset:         60
        .size:           2
        .value_kind:     hidden_group_size_x
      - .offset:         62
        .size:           2
        .value_kind:     hidden_group_size_y
      - .offset:         64
        .size:           2
        .value_kind:     hidden_group_size_z
      - .offset:         66
        .size:           2
        .value_kind:     hidden_remainder_x
      - .offset:         68
        .size:           2
        .value_kind:     hidden_remainder_y
      - .offset:         70
        .size:           2
        .value_kind:     hidden_remainder_z
      - .offset:         88
        .size:           8
        .value_kind:     hidden_global_offset_x
      - .offset:         96
        .size:           8
        .value_kind:     hidden_global_offset_y
      - .offset:         104
        .size:           8
        .value_kind:     hidden_global_offset_z
      - .offset:         112
        .size:           2
        .value_kind:     hidden_grid_dims
    .group_segment_fixed_size: 512
    .kernarg_segment_align: 8
    .kernarg_segment_size: 304
    .language:       OpenCL C
    .language_version:
      - 2
      - 0
    .max_flat_workgroup_size: 1024
    .name:           _ZL35rocblas_iamax_iamin_kernel_part1_64ILi1024E26rocblas_fetch_amax_amin_64IdE22rocblas_reduce_amax_64PK19rocblas_complex_numIdE24rocblas_index_64_value_tIdEEvlT2_lllPT3_
    .private_segment_fixed_size: 0
    .sgpr_count:     26
    .sgpr_spill_count: 0
    .symbol:         _ZL35rocblas_iamax_iamin_kernel_part1_64ILi1024E26rocblas_fetch_amax_amin_64IdE22rocblas_reduce_amax_64PK19rocblas_complex_numIdE24rocblas_index_64_value_tIdEEvlT2_lllPT3_.kd
    .uniform_work_group_size: 1
    .uses_dynamic_stack: false
    .vgpr_count:     31
    .vgpr_spill_count: 0
    .wavefront_size: 32
    .workgroup_processor_mode: 1
  - .args:
      - .offset:         0
        .size:           8
        .value_kind:     by_value
      - .address_space:  global
        .offset:         8
        .size:           8
        .value_kind:     global_buffer
      - .offset:         16
        .size:           8
        .value_kind:     by_value
      - .offset:         24
        .size:           8
        .value_kind:     by_value
      - .offset:         32
        .size:           8
        .value_kind:     by_value
      - .address_space:  global
        .offset:         40
        .size:           8
        .value_kind:     global_buffer
      - .offset:         48
        .size:           4
        .value_kind:     hidden_block_count_x
      - .offset:         52
        .size:           4
        .value_kind:     hidden_block_count_y
      - .offset:         56
        .size:           4
        .value_kind:     hidden_block_count_z
      - .offset:         60
        .size:           2
        .value_kind:     hidden_group_size_x
      - .offset:         62
        .size:           2
        .value_kind:     hidden_group_size_y
      - .offset:         64
        .size:           2
        .value_kind:     hidden_group_size_z
      - .offset:         66
        .size:           2
        .value_kind:     hidden_remainder_x
      - .offset:         68
        .size:           2
        .value_kind:     hidden_remainder_y
      - .offset:         70
        .size:           2
        .value_kind:     hidden_remainder_z
      - .offset:         88
        .size:           8
        .value_kind:     hidden_global_offset_x
      - .offset:         96
        .size:           8
        .value_kind:     hidden_global_offset_y
      - .offset:         104
        .size:           8
        .value_kind:     hidden_global_offset_z
      - .offset:         112
        .size:           2
        .value_kind:     hidden_grid_dims
    .group_segment_fixed_size: 512
    .kernarg_segment_align: 8
    .kernarg_segment_size: 304
    .language:       OpenCL C
    .language_version:
      - 2
      - 0
    .max_flat_workgroup_size: 1024
    .name:           _ZL35rocblas_iamax_iamin_kernel_part1_64ILi1024E26rocblas_fetch_amax_amin_64IfE22rocblas_reduce_amax_64PKPKf24rocblas_index_64_value_tIfEEvlT2_lllPT3_
    .private_segment_fixed_size: 0
    .sgpr_count:     26
    .sgpr_spill_count: 0
    .symbol:         _ZL35rocblas_iamax_iamin_kernel_part1_64ILi1024E26rocblas_fetch_amax_amin_64IfE22rocblas_reduce_amax_64PKPKf24rocblas_index_64_value_tIfEEvlT2_lllPT3_.kd
    .uniform_work_group_size: 1
    .uses_dynamic_stack: false
    .vgpr_count:     25
    .vgpr_spill_count: 0
    .wavefront_size: 32
    .workgroup_processor_mode: 1
  - .args:
      - .offset:         0
        .size:           8
        .value_kind:     by_value
      - .address_space:  global
        .offset:         8
        .size:           8
        .value_kind:     global_buffer
      - .offset:         16
        .size:           8
        .value_kind:     by_value
      - .offset:         24
        .size:           8
        .value_kind:     by_value
      - .offset:         32
        .size:           8
        .value_kind:     by_value
      - .address_space:  global
        .offset:         40
        .size:           8
        .value_kind:     global_buffer
      - .offset:         48
        .size:           4
        .value_kind:     hidden_block_count_x
      - .offset:         52
        .size:           4
        .value_kind:     hidden_block_count_y
      - .offset:         56
        .size:           4
        .value_kind:     hidden_block_count_z
      - .offset:         60
        .size:           2
        .value_kind:     hidden_group_size_x
      - .offset:         62
        .size:           2
        .value_kind:     hidden_group_size_y
      - .offset:         64
        .size:           2
        .value_kind:     hidden_group_size_z
      - .offset:         66
        .size:           2
        .value_kind:     hidden_remainder_x
      - .offset:         68
        .size:           2
        .value_kind:     hidden_remainder_y
      - .offset:         70
        .size:           2
        .value_kind:     hidden_remainder_z
      - .offset:         88
        .size:           8
        .value_kind:     hidden_global_offset_x
      - .offset:         96
        .size:           8
        .value_kind:     hidden_global_offset_y
      - .offset:         104
        .size:           8
        .value_kind:     hidden_global_offset_z
      - .offset:         112
        .size:           2
        .value_kind:     hidden_grid_dims
    .group_segment_fixed_size: 512
    .kernarg_segment_align: 8
    .kernarg_segment_size: 304
    .language:       OpenCL C
    .language_version:
      - 2
      - 0
    .max_flat_workgroup_size: 1024
    .name:           _ZL35rocblas_iamax_iamin_kernel_part1_64ILi1024E26rocblas_fetch_amax_amin_64IdE22rocblas_reduce_amax_64PKPKd24rocblas_index_64_value_tIdEEvlT2_lllPT3_
    .private_segment_fixed_size: 0
    .sgpr_count:     26
    .sgpr_spill_count: 0
    .symbol:         _ZL35rocblas_iamax_iamin_kernel_part1_64ILi1024E26rocblas_fetch_amax_amin_64IdE22rocblas_reduce_amax_64PKPKd24rocblas_index_64_value_tIdEEvlT2_lllPT3_.kd
    .uniform_work_group_size: 1
    .uses_dynamic_stack: false
    .vgpr_count:     31
    .vgpr_spill_count: 0
    .wavefront_size: 32
    .workgroup_processor_mode: 1
  - .args:
      - .offset:         0
        .size:           8
        .value_kind:     by_value
      - .address_space:  global
        .offset:         8
        .size:           8
        .value_kind:     global_buffer
      - .offset:         16
        .size:           8
        .value_kind:     by_value
      - .offset:         24
        .size:           8
        .value_kind:     by_value
      - .offset:         32
        .size:           8
        .value_kind:     by_value
      - .address_space:  global
        .offset:         40
        .size:           8
        .value_kind:     global_buffer
      - .offset:         48
        .size:           4
        .value_kind:     hidden_block_count_x
      - .offset:         52
        .size:           4
        .value_kind:     hidden_block_count_y
      - .offset:         56
        .size:           4
        .value_kind:     hidden_block_count_z
      - .offset:         60
        .size:           2
        .value_kind:     hidden_group_size_x
      - .offset:         62
        .size:           2
        .value_kind:     hidden_group_size_y
      - .offset:         64
        .size:           2
        .value_kind:     hidden_group_size_z
      - .offset:         66
        .size:           2
        .value_kind:     hidden_remainder_x
      - .offset:         68
        .size:           2
        .value_kind:     hidden_remainder_y
      - .offset:         70
        .size:           2
        .value_kind:     hidden_remainder_z
      - .offset:         88
        .size:           8
        .value_kind:     hidden_global_offset_x
      - .offset:         96
        .size:           8
        .value_kind:     hidden_global_offset_y
      - .offset:         104
        .size:           8
        .value_kind:     hidden_global_offset_z
      - .offset:         112
        .size:           2
        .value_kind:     hidden_grid_dims
    .group_segment_fixed_size: 512
    .kernarg_segment_align: 8
    .kernarg_segment_size: 304
    .language:       OpenCL C
    .language_version:
      - 2
      - 0
    .max_flat_workgroup_size: 1024
    .name:           _ZL35rocblas_iamax_iamin_kernel_part1_64ILi1024E26rocblas_fetch_amax_amin_64IfE22rocblas_reduce_amax_64PKPK19rocblas_complex_numIfE24rocblas_index_64_value_tIfEEvlT2_lllPT3_
    .private_segment_fixed_size: 0
    .sgpr_count:     26
    .sgpr_spill_count: 0
    .symbol:         _ZL35rocblas_iamax_iamin_kernel_part1_64ILi1024E26rocblas_fetch_amax_amin_64IfE22rocblas_reduce_amax_64PKPK19rocblas_complex_numIfE24rocblas_index_64_value_tIfEEvlT2_lllPT3_.kd
    .uniform_work_group_size: 1
    .uses_dynamic_stack: false
    .vgpr_count:     25
    .vgpr_spill_count: 0
    .wavefront_size: 32
    .workgroup_processor_mode: 1
  - .args:
      - .offset:         0
        .size:           8
        .value_kind:     by_value
      - .address_space:  global
        .offset:         8
        .size:           8
        .value_kind:     global_buffer
      - .offset:         16
        .size:           8
        .value_kind:     by_value
      - .offset:         24
        .size:           8
        .value_kind:     by_value
      - .offset:         32
        .size:           8
        .value_kind:     by_value
      - .address_space:  global
        .offset:         40
        .size:           8
        .value_kind:     global_buffer
      - .offset:         48
        .size:           4
        .value_kind:     hidden_block_count_x
      - .offset:         52
        .size:           4
        .value_kind:     hidden_block_count_y
      - .offset:         56
        .size:           4
        .value_kind:     hidden_block_count_z
      - .offset:         60
        .size:           2
        .value_kind:     hidden_group_size_x
      - .offset:         62
        .size:           2
        .value_kind:     hidden_group_size_y
      - .offset:         64
        .size:           2
        .value_kind:     hidden_group_size_z
      - .offset:         66
        .size:           2
        .value_kind:     hidden_remainder_x
      - .offset:         68
        .size:           2
        .value_kind:     hidden_remainder_y
      - .offset:         70
        .size:           2
        .value_kind:     hidden_remainder_z
      - .offset:         88
        .size:           8
        .value_kind:     hidden_global_offset_x
      - .offset:         96
        .size:           8
        .value_kind:     hidden_global_offset_y
      - .offset:         104
        .size:           8
        .value_kind:     hidden_global_offset_z
      - .offset:         112
        .size:           2
        .value_kind:     hidden_grid_dims
    .group_segment_fixed_size: 512
    .kernarg_segment_align: 8
    .kernarg_segment_size: 304
    .language:       OpenCL C
    .language_version:
      - 2
      - 0
    .max_flat_workgroup_size: 1024
    .name:           _ZL35rocblas_iamax_iamin_kernel_part1_64ILi1024E26rocblas_fetch_amax_amin_64IdE22rocblas_reduce_amax_64PKPK19rocblas_complex_numIdE24rocblas_index_64_value_tIdEEvlT2_lllPT3_
    .private_segment_fixed_size: 0
    .sgpr_count:     26
    .sgpr_spill_count: 0
    .symbol:         _ZL35rocblas_iamax_iamin_kernel_part1_64ILi1024E26rocblas_fetch_amax_amin_64IdE22rocblas_reduce_amax_64PKPK19rocblas_complex_numIdE24rocblas_index_64_value_tIdEEvlT2_lllPT3_.kd
    .uniform_work_group_size: 1
    .uses_dynamic_stack: false
    .vgpr_count:     31
    .vgpr_spill_count: 0
    .wavefront_size: 32
    .workgroup_processor_mode: 1
  - .args:
      - .offset:         0
        .size:           8
        .value_kind:     by_value
      - .address_space:  global
        .offset:         8
        .size:           8
        .value_kind:     global_buffer
      - .offset:         16
        .size:           8
        .value_kind:     by_value
      - .offset:         24
        .size:           8
        .value_kind:     by_value
      - .offset:         32
        .size:           8
        .value_kind:     by_value
      - .address_space:  global
        .offset:         40
        .size:           8
        .value_kind:     global_buffer
      - .offset:         48
        .size:           4
        .value_kind:     hidden_block_count_x
      - .offset:         52
        .size:           4
        .value_kind:     hidden_block_count_y
      - .offset:         56
        .size:           4
        .value_kind:     hidden_block_count_z
      - .offset:         60
        .size:           2
        .value_kind:     hidden_group_size_x
      - .offset:         62
        .size:           2
        .value_kind:     hidden_group_size_y
      - .offset:         64
        .size:           2
        .value_kind:     hidden_group_size_z
      - .offset:         66
        .size:           2
        .value_kind:     hidden_remainder_x
      - .offset:         68
        .size:           2
        .value_kind:     hidden_remainder_y
      - .offset:         70
        .size:           2
        .value_kind:     hidden_remainder_z
      - .offset:         88
        .size:           8
        .value_kind:     hidden_global_offset_x
      - .offset:         96
        .size:           8
        .value_kind:     hidden_global_offset_y
      - .offset:         104
        .size:           8
        .value_kind:     hidden_global_offset_z
      - .offset:         112
        .size:           2
        .value_kind:     hidden_grid_dims
    .group_segment_fixed_size: 512
    .kernarg_segment_align: 8
    .kernarg_segment_size: 304
    .language:       OpenCL C
    .language_version:
      - 2
      - 0
    .max_flat_workgroup_size: 1024
    .name:           _ZL35rocblas_iamax_iamin_kernel_part1_64ILi1024E26rocblas_fetch_amax_amin_64IfE22rocblas_reduce_amin_64PKf24rocblas_index_64_value_tIfEEvlT2_lllPT3_
    .private_segment_fixed_size: 0
    .sgpr_count:     26
    .sgpr_spill_count: 0
    .symbol:         _ZL35rocblas_iamax_iamin_kernel_part1_64ILi1024E26rocblas_fetch_amax_amin_64IfE22rocblas_reduce_amin_64PKf24rocblas_index_64_value_tIfEEvlT2_lllPT3_.kd
    .uniform_work_group_size: 1
    .uses_dynamic_stack: false
    .vgpr_count:     25
    .vgpr_spill_count: 0
    .wavefront_size: 32
    .workgroup_processor_mode: 1
  - .args:
      - .offset:         0
        .size:           4
        .value_kind:     by_value
      - .address_space:  global
        .offset:         8
        .size:           8
        .value_kind:     global_buffer
      - .address_space:  global
        .offset:         16
        .size:           8
        .value_kind:     global_buffer
    .group_segment_fixed_size: 512
    .kernarg_segment_align: 8
    .kernarg_segment_size: 24
    .language:       OpenCL C
    .language_version:
      - 2
      - 0
    .max_flat_workgroup_size: 1024
    .name:           _ZL35rocblas_iamax_iamin_kernel_part2_64ILi1024E22rocblas_reduce_amin_6424rocblas_index_64_value_tIfElEviPT1_PT2_
    .private_segment_fixed_size: 0
    .sgpr_count:     18
    .sgpr_spill_count: 0
    .symbol:         _ZL35rocblas_iamax_iamin_kernel_part2_64ILi1024E22rocblas_reduce_amin_6424rocblas_index_64_value_tIfElEviPT1_PT2_.kd
    .uniform_work_group_size: 1
    .uses_dynamic_stack: false
    .vgpr_count:     16
    .vgpr_spill_count: 0
    .wavefront_size: 32
    .workgroup_processor_mode: 1
  - .args:
      - .offset:         0
        .size:           8
        .value_kind:     by_value
      - .address_space:  global
        .offset:         8
        .size:           8
        .value_kind:     global_buffer
      - .offset:         16
        .size:           8
        .value_kind:     by_value
      - .offset:         24
        .size:           8
        .value_kind:     by_value
      - .offset:         32
        .size:           8
        .value_kind:     by_value
      - .address_space:  global
        .offset:         40
        .size:           8
        .value_kind:     global_buffer
      - .offset:         48
        .size:           4
        .value_kind:     hidden_block_count_x
      - .offset:         52
        .size:           4
        .value_kind:     hidden_block_count_y
      - .offset:         56
        .size:           4
        .value_kind:     hidden_block_count_z
      - .offset:         60
        .size:           2
        .value_kind:     hidden_group_size_x
      - .offset:         62
        .size:           2
        .value_kind:     hidden_group_size_y
      - .offset:         64
        .size:           2
        .value_kind:     hidden_group_size_z
      - .offset:         66
        .size:           2
        .value_kind:     hidden_remainder_x
      - .offset:         68
        .size:           2
        .value_kind:     hidden_remainder_y
      - .offset:         70
        .size:           2
        .value_kind:     hidden_remainder_z
      - .offset:         88
        .size:           8
        .value_kind:     hidden_global_offset_x
      - .offset:         96
        .size:           8
        .value_kind:     hidden_global_offset_y
      - .offset:         104
        .size:           8
        .value_kind:     hidden_global_offset_z
      - .offset:         112
        .size:           2
        .value_kind:     hidden_grid_dims
    .group_segment_fixed_size: 512
    .kernarg_segment_align: 8
    .kernarg_segment_size: 304
    .language:       OpenCL C
    .language_version:
      - 2
      - 0
    .max_flat_workgroup_size: 1024
    .name:           _ZL35rocblas_iamax_iamin_kernel_part1_64ILi1024E26rocblas_fetch_amax_amin_64IdE22rocblas_reduce_amin_64PKd24rocblas_index_64_value_tIdEEvlT2_lllPT3_
    .private_segment_fixed_size: 0
    .sgpr_count:     26
    .sgpr_spill_count: 0
    .symbol:         _ZL35rocblas_iamax_iamin_kernel_part1_64ILi1024E26rocblas_fetch_amax_amin_64IdE22rocblas_reduce_amin_64PKd24rocblas_index_64_value_tIdEEvlT2_lllPT3_.kd
    .uniform_work_group_size: 1
    .uses_dynamic_stack: false
    .vgpr_count:     31
    .vgpr_spill_count: 0
    .wavefront_size: 32
    .workgroup_processor_mode: 1
  - .args:
      - .offset:         0
        .size:           4
        .value_kind:     by_value
      - .address_space:  global
        .offset:         8
        .size:           8
        .value_kind:     global_buffer
      - .address_space:  global
        .offset:         16
        .size:           8
        .value_kind:     global_buffer
    .group_segment_fixed_size: 512
    .kernarg_segment_align: 8
    .kernarg_segment_size: 24
    .language:       OpenCL C
    .language_version:
      - 2
      - 0
    .max_flat_workgroup_size: 1024
    .name:           _ZL35rocblas_iamax_iamin_kernel_part2_64ILi1024E22rocblas_reduce_amin_6424rocblas_index_64_value_tIdElEviPT1_PT2_
    .private_segment_fixed_size: 0
    .sgpr_count:     18
    .sgpr_spill_count: 0
    .symbol:         _ZL35rocblas_iamax_iamin_kernel_part2_64ILi1024E22rocblas_reduce_amin_6424rocblas_index_64_value_tIdElEviPT1_PT2_.kd
    .uniform_work_group_size: 1
    .uses_dynamic_stack: false
    .vgpr_count:     20
    .vgpr_spill_count: 0
    .wavefront_size: 32
    .workgroup_processor_mode: 1
  - .args:
      - .offset:         0
        .size:           8
        .value_kind:     by_value
      - .address_space:  global
        .offset:         8
        .size:           8
        .value_kind:     global_buffer
      - .offset:         16
        .size:           8
        .value_kind:     by_value
      - .offset:         24
        .size:           8
        .value_kind:     by_value
      - .offset:         32
        .size:           8
        .value_kind:     by_value
      - .address_space:  global
        .offset:         40
        .size:           8
        .value_kind:     global_buffer
      - .offset:         48
        .size:           4
        .value_kind:     hidden_block_count_x
      - .offset:         52
        .size:           4
        .value_kind:     hidden_block_count_y
      - .offset:         56
        .size:           4
        .value_kind:     hidden_block_count_z
      - .offset:         60
        .size:           2
        .value_kind:     hidden_group_size_x
      - .offset:         62
        .size:           2
        .value_kind:     hidden_group_size_y
      - .offset:         64
        .size:           2
        .value_kind:     hidden_group_size_z
      - .offset:         66
        .size:           2
        .value_kind:     hidden_remainder_x
      - .offset:         68
        .size:           2
        .value_kind:     hidden_remainder_y
      - .offset:         70
        .size:           2
        .value_kind:     hidden_remainder_z
      - .offset:         88
        .size:           8
        .value_kind:     hidden_global_offset_x
      - .offset:         96
        .size:           8
        .value_kind:     hidden_global_offset_y
      - .offset:         104
        .size:           8
        .value_kind:     hidden_global_offset_z
      - .offset:         112
        .size:           2
        .value_kind:     hidden_grid_dims
    .group_segment_fixed_size: 512
    .kernarg_segment_align: 8
    .kernarg_segment_size: 304
    .language:       OpenCL C
    .language_version:
      - 2
      - 0
    .max_flat_workgroup_size: 1024
    .name:           _ZL35rocblas_iamax_iamin_kernel_part1_64ILi1024E26rocblas_fetch_amax_amin_64IfE22rocblas_reduce_amin_64PK19rocblas_complex_numIfE24rocblas_index_64_value_tIfEEvlT2_lllPT3_
    .private_segment_fixed_size: 0
    .sgpr_count:     26
    .sgpr_spill_count: 0
    .symbol:         _ZL35rocblas_iamax_iamin_kernel_part1_64ILi1024E26rocblas_fetch_amax_amin_64IfE22rocblas_reduce_amin_64PK19rocblas_complex_numIfE24rocblas_index_64_value_tIfEEvlT2_lllPT3_.kd
    .uniform_work_group_size: 1
    .uses_dynamic_stack: false
    .vgpr_count:     25
    .vgpr_spill_count: 0
    .wavefront_size: 32
    .workgroup_processor_mode: 1
  - .args:
      - .offset:         0
        .size:           8
        .value_kind:     by_value
      - .address_space:  global
        .offset:         8
        .size:           8
        .value_kind:     global_buffer
      - .offset:         16
        .size:           8
        .value_kind:     by_value
      - .offset:         24
        .size:           8
        .value_kind:     by_value
      - .offset:         32
        .size:           8
        .value_kind:     by_value
      - .address_space:  global
        .offset:         40
        .size:           8
        .value_kind:     global_buffer
      - .offset:         48
        .size:           4
        .value_kind:     hidden_block_count_x
      - .offset:         52
        .size:           4
        .value_kind:     hidden_block_count_y
      - .offset:         56
        .size:           4
        .value_kind:     hidden_block_count_z
      - .offset:         60
        .size:           2
        .value_kind:     hidden_group_size_x
      - .offset:         62
        .size:           2
        .value_kind:     hidden_group_size_y
      - .offset:         64
        .size:           2
        .value_kind:     hidden_group_size_z
      - .offset:         66
        .size:           2
        .value_kind:     hidden_remainder_x
      - .offset:         68
        .size:           2
        .value_kind:     hidden_remainder_y
      - .offset:         70
        .size:           2
        .value_kind:     hidden_remainder_z
      - .offset:         88
        .size:           8
        .value_kind:     hidden_global_offset_x
      - .offset:         96
        .size:           8
        .value_kind:     hidden_global_offset_y
      - .offset:         104
        .size:           8
        .value_kind:     hidden_global_offset_z
      - .offset:         112
        .size:           2
        .value_kind:     hidden_grid_dims
    .group_segment_fixed_size: 512
    .kernarg_segment_align: 8
    .kernarg_segment_size: 304
    .language:       OpenCL C
    .language_version:
      - 2
      - 0
    .max_flat_workgroup_size: 1024
    .name:           _ZL35rocblas_iamax_iamin_kernel_part1_64ILi1024E26rocblas_fetch_amax_amin_64IdE22rocblas_reduce_amin_64PK19rocblas_complex_numIdE24rocblas_index_64_value_tIdEEvlT2_lllPT3_
    .private_segment_fixed_size: 0
    .sgpr_count:     26
    .sgpr_spill_count: 0
    .symbol:         _ZL35rocblas_iamax_iamin_kernel_part1_64ILi1024E26rocblas_fetch_amax_amin_64IdE22rocblas_reduce_amin_64PK19rocblas_complex_numIdE24rocblas_index_64_value_tIdEEvlT2_lllPT3_.kd
    .uniform_work_group_size: 1
    .uses_dynamic_stack: false
    .vgpr_count:     31
    .vgpr_spill_count: 0
    .wavefront_size: 32
    .workgroup_processor_mode: 1
  - .args:
      - .offset:         0
        .size:           8
        .value_kind:     by_value
      - .address_space:  global
        .offset:         8
        .size:           8
        .value_kind:     global_buffer
      - .offset:         16
        .size:           8
        .value_kind:     by_value
      - .offset:         24
        .size:           8
        .value_kind:     by_value
      - .offset:         32
        .size:           8
        .value_kind:     by_value
      - .address_space:  global
        .offset:         40
        .size:           8
        .value_kind:     global_buffer
      - .offset:         48
        .size:           4
        .value_kind:     hidden_block_count_x
      - .offset:         52
        .size:           4
        .value_kind:     hidden_block_count_y
      - .offset:         56
        .size:           4
        .value_kind:     hidden_block_count_z
      - .offset:         60
        .size:           2
        .value_kind:     hidden_group_size_x
      - .offset:         62
        .size:           2
        .value_kind:     hidden_group_size_y
      - .offset:         64
        .size:           2
        .value_kind:     hidden_group_size_z
      - .offset:         66
        .size:           2
        .value_kind:     hidden_remainder_x
      - .offset:         68
        .size:           2
        .value_kind:     hidden_remainder_y
      - .offset:         70
        .size:           2
        .value_kind:     hidden_remainder_z
      - .offset:         88
        .size:           8
        .value_kind:     hidden_global_offset_x
      - .offset:         96
        .size:           8
        .value_kind:     hidden_global_offset_y
      - .offset:         104
        .size:           8
        .value_kind:     hidden_global_offset_z
      - .offset:         112
        .size:           2
        .value_kind:     hidden_grid_dims
    .group_segment_fixed_size: 512
    .kernarg_segment_align: 8
    .kernarg_segment_size: 304
    .language:       OpenCL C
    .language_version:
      - 2
      - 0
    .max_flat_workgroup_size: 1024
    .name:           _ZL35rocblas_iamax_iamin_kernel_part1_64ILi1024E26rocblas_fetch_amax_amin_64IfE22rocblas_reduce_amin_64PKPKf24rocblas_index_64_value_tIfEEvlT2_lllPT3_
    .private_segment_fixed_size: 0
    .sgpr_count:     26
    .sgpr_spill_count: 0
    .symbol:         _ZL35rocblas_iamax_iamin_kernel_part1_64ILi1024E26rocblas_fetch_amax_amin_64IfE22rocblas_reduce_amin_64PKPKf24rocblas_index_64_value_tIfEEvlT2_lllPT3_.kd
    .uniform_work_group_size: 1
    .uses_dynamic_stack: false
    .vgpr_count:     25
    .vgpr_spill_count: 0
    .wavefront_size: 32
    .workgroup_processor_mode: 1
  - .args:
      - .offset:         0
        .size:           8
        .value_kind:     by_value
      - .address_space:  global
        .offset:         8
        .size:           8
        .value_kind:     global_buffer
      - .offset:         16
        .size:           8
        .value_kind:     by_value
      - .offset:         24
        .size:           8
        .value_kind:     by_value
      - .offset:         32
        .size:           8
        .value_kind:     by_value
      - .address_space:  global
        .offset:         40
        .size:           8
        .value_kind:     global_buffer
      - .offset:         48
        .size:           4
        .value_kind:     hidden_block_count_x
      - .offset:         52
        .size:           4
        .value_kind:     hidden_block_count_y
      - .offset:         56
        .size:           4
        .value_kind:     hidden_block_count_z
      - .offset:         60
        .size:           2
        .value_kind:     hidden_group_size_x
      - .offset:         62
        .size:           2
        .value_kind:     hidden_group_size_y
      - .offset:         64
        .size:           2
        .value_kind:     hidden_group_size_z
      - .offset:         66
        .size:           2
        .value_kind:     hidden_remainder_x
      - .offset:         68
        .size:           2
        .value_kind:     hidden_remainder_y
      - .offset:         70
        .size:           2
        .value_kind:     hidden_remainder_z
      - .offset:         88
        .size:           8
        .value_kind:     hidden_global_offset_x
      - .offset:         96
        .size:           8
        .value_kind:     hidden_global_offset_y
      - .offset:         104
        .size:           8
        .value_kind:     hidden_global_offset_z
      - .offset:         112
        .size:           2
        .value_kind:     hidden_grid_dims
    .group_segment_fixed_size: 512
    .kernarg_segment_align: 8
    .kernarg_segment_size: 304
    .language:       OpenCL C
    .language_version:
      - 2
      - 0
    .max_flat_workgroup_size: 1024
    .name:           _ZL35rocblas_iamax_iamin_kernel_part1_64ILi1024E26rocblas_fetch_amax_amin_64IdE22rocblas_reduce_amin_64PKPKd24rocblas_index_64_value_tIdEEvlT2_lllPT3_
    .private_segment_fixed_size: 0
    .sgpr_count:     26
    .sgpr_spill_count: 0
    .symbol:         _ZL35rocblas_iamax_iamin_kernel_part1_64ILi1024E26rocblas_fetch_amax_amin_64IdE22rocblas_reduce_amin_64PKPKd24rocblas_index_64_value_tIdEEvlT2_lllPT3_.kd
    .uniform_work_group_size: 1
    .uses_dynamic_stack: false
    .vgpr_count:     31
    .vgpr_spill_count: 0
    .wavefront_size: 32
    .workgroup_processor_mode: 1
  - .args:
      - .offset:         0
        .size:           8
        .value_kind:     by_value
      - .address_space:  global
        .offset:         8
        .size:           8
        .value_kind:     global_buffer
      - .offset:         16
        .size:           8
        .value_kind:     by_value
      - .offset:         24
        .size:           8
        .value_kind:     by_value
      - .offset:         32
        .size:           8
        .value_kind:     by_value
      - .address_space:  global
        .offset:         40
        .size:           8
        .value_kind:     global_buffer
      - .offset:         48
        .size:           4
        .value_kind:     hidden_block_count_x
      - .offset:         52
        .size:           4
        .value_kind:     hidden_block_count_y
      - .offset:         56
        .size:           4
        .value_kind:     hidden_block_count_z
      - .offset:         60
        .size:           2
        .value_kind:     hidden_group_size_x
      - .offset:         62
        .size:           2
        .value_kind:     hidden_group_size_y
      - .offset:         64
        .size:           2
        .value_kind:     hidden_group_size_z
      - .offset:         66
        .size:           2
        .value_kind:     hidden_remainder_x
      - .offset:         68
        .size:           2
        .value_kind:     hidden_remainder_y
      - .offset:         70
        .size:           2
        .value_kind:     hidden_remainder_z
      - .offset:         88
        .size:           8
        .value_kind:     hidden_global_offset_x
      - .offset:         96
        .size:           8
        .value_kind:     hidden_global_offset_y
      - .offset:         104
        .size:           8
        .value_kind:     hidden_global_offset_z
      - .offset:         112
        .size:           2
        .value_kind:     hidden_grid_dims
    .group_segment_fixed_size: 512
    .kernarg_segment_align: 8
    .kernarg_segment_size: 304
    .language:       OpenCL C
    .language_version:
      - 2
      - 0
    .max_flat_workgroup_size: 1024
    .name:           _ZL35rocblas_iamax_iamin_kernel_part1_64ILi1024E26rocblas_fetch_amax_amin_64IfE22rocblas_reduce_amin_64PKPK19rocblas_complex_numIfE24rocblas_index_64_value_tIfEEvlT2_lllPT3_
    .private_segment_fixed_size: 0
    .sgpr_count:     26
    .sgpr_spill_count: 0
    .symbol:         _ZL35rocblas_iamax_iamin_kernel_part1_64ILi1024E26rocblas_fetch_amax_amin_64IfE22rocblas_reduce_amin_64PKPK19rocblas_complex_numIfE24rocblas_index_64_value_tIfEEvlT2_lllPT3_.kd
    .uniform_work_group_size: 1
    .uses_dynamic_stack: false
    .vgpr_count:     25
    .vgpr_spill_count: 0
    .wavefront_size: 32
    .workgroup_processor_mode: 1
  - .args:
      - .offset:         0
        .size:           8
        .value_kind:     by_value
      - .address_space:  global
        .offset:         8
        .size:           8
        .value_kind:     global_buffer
      - .offset:         16
        .size:           8
        .value_kind:     by_value
      - .offset:         24
        .size:           8
        .value_kind:     by_value
      - .offset:         32
        .size:           8
        .value_kind:     by_value
      - .address_space:  global
        .offset:         40
        .size:           8
        .value_kind:     global_buffer
      - .offset:         48
        .size:           4
        .value_kind:     hidden_block_count_x
      - .offset:         52
        .size:           4
        .value_kind:     hidden_block_count_y
      - .offset:         56
        .size:           4
        .value_kind:     hidden_block_count_z
      - .offset:         60
        .size:           2
        .value_kind:     hidden_group_size_x
      - .offset:         62
        .size:           2
        .value_kind:     hidden_group_size_y
      - .offset:         64
        .size:           2
        .value_kind:     hidden_group_size_z
      - .offset:         66
        .size:           2
        .value_kind:     hidden_remainder_x
      - .offset:         68
        .size:           2
        .value_kind:     hidden_remainder_y
      - .offset:         70
        .size:           2
        .value_kind:     hidden_remainder_z
      - .offset:         88
        .size:           8
        .value_kind:     hidden_global_offset_x
      - .offset:         96
        .size:           8
        .value_kind:     hidden_global_offset_y
      - .offset:         104
        .size:           8
        .value_kind:     hidden_global_offset_z
      - .offset:         112
        .size:           2
        .value_kind:     hidden_grid_dims
    .group_segment_fixed_size: 512
    .kernarg_segment_align: 8
    .kernarg_segment_size: 304
    .language:       OpenCL C
    .language_version:
      - 2
      - 0
    .max_flat_workgroup_size: 1024
    .name:           _ZL35rocblas_iamax_iamin_kernel_part1_64ILi1024E26rocblas_fetch_amax_amin_64IdE22rocblas_reduce_amin_64PKPK19rocblas_complex_numIdE24rocblas_index_64_value_tIdEEvlT2_lllPT3_
    .private_segment_fixed_size: 0
    .sgpr_count:     26
    .sgpr_spill_count: 0
    .symbol:         _ZL35rocblas_iamax_iamin_kernel_part1_64ILi1024E26rocblas_fetch_amax_amin_64IdE22rocblas_reduce_amin_64PKPK19rocblas_complex_numIdE24rocblas_index_64_value_tIdEEvlT2_lllPT3_.kd
    .uniform_work_group_size: 1
    .uses_dynamic_stack: false
    .vgpr_count:     31
    .vgpr_spill_count: 0
    .wavefront_size: 32
    .workgroup_processor_mode: 1
amdhsa.target:   amdgcn-amd-amdhsa--gfx1100
amdhsa.version:
  - 1
  - 2
...

	.end_amdgpu_metadata
